;; amdgpu-corpus repo=ROCm/aiter kind=harvested arch=n/a opt=n/a

/root/src/amdgpu-assembly/repos/ROCm__aiter/hsa/gfx950/fmoe_2stages/fmoe_stage1_bf16_pertokenFp8_g1u1_16x256_2tg_pf3.co:	file format elf64-amdgpu

Disassembly of section .text:

0000000000002a00 <_ZN5aiter48fmoe_stage1_bf16_pertokenFp8_g1u1_16x256_2tg_pf3E>:
	s_and_b32 s1, s1, 0xffff                                   // 000000002A00: 8601FF01 0000FFFF
	s_load_dwordx2 s[8:9], s[0:1], 0x0                         // 000000002A08: C0060200 00000000
	s_load_dwordx2 s[20:21], s[0:1], 0x10                      // 000000002A10: C0060500 00000010
	s_load_dwordx2 s[24:25], s[0:1], 0x20                      // 000000002A18: C0060600 00000020
	s_load_dwordx2 s[48:49], s[0:1], 0x30                      // 000000002A20: C0060C00 00000030
	s_load_dwordx2 s[28:29], s[0:1], 0x40                      // 000000002A28: C0060700 00000040
	s_load_dwordx2 s[32:33], s[0:1], 0x50                      // 000000002A30: C0060800 00000050
	s_load_dwordx2 s[36:37], s[0:1], 0x60                      // 000000002A38: C0060900 00000060
	s_load_dwordx2 s[12:13], s[0:1], 0x70                      // 000000002A40: C0060300 00000070
	s_load_dwordx2 s[44:45], s[0:1], 0x80                      // 000000002A48: C0060B00 00000080
	s_mov_b32 s89, 0                                           // 000000002A50: BED90080
	s_load_dword s64, s[0:1], 0x90                             // 000000002A54: C0021000 00000090
	s_load_dword s65, s[0:1], 0xa0                             // 000000002A5C: C0021040 000000A0
	s_load_dword s66, s[0:1], 0xb0                             // 000000002A64: C0021080 000000B0
	s_load_dword s67, s[0:1], 0xc0                             // 000000002A6C: C00210C0 000000C0
	s_load_dword s68, s[0:1], 0xd0                             // 000000002A74: C0021100 000000D0
	s_load_dword s69, s[0:1], 0xe0                             // 000000002A7C: C0021140 000000E0
	s_load_dword s71, s[0:1], 0xf0                             // 000000002A84: C00211C0 000000F0
	s_load_dword s72, s[0:1], 0x100                            // 000000002A8C: C0021200 00000100
	s_load_dword s74, s[0:1], 0x110                            // 000000002A94: C0021280 00000110
	s_load_dword s76, s[0:1], 0x120                            // 000000002A9C: C0021300 00000120
	s_load_dword s56, s[0:1], 0x130                            // 000000002AA4: C0020E00 00000130
	s_load_dword s88, s[0:1], 0x140                            // 000000002AAC: C0021600 00000140
	s_load_dword s89, s[0:1], 0x150                            // 000000002AB4: C0021640 00000150
	v_lshrrev_b32_e32 v1, 10, v0                               // 000000002ABC: 2002008A
	v_lshrrev_b32_e32 v2, 10, v1                               // 000000002AC0: 2004028A
	v_and_b32_e32 v2, 0x3ff, v2                                // 000000002AC4: 260404FF 000003FF
	v_and_b32_e32 v1, 0x3ff, v1                                // 000000002ACC: 260202FF 000003FF
	v_and_b32_e32 v0, 0x3ff, v0                                // 000000002AD4: 260000FF 000003FF
	v_lshrrev_b32_e32 v3, 6, v0                                // 000000002ADC: 20060086
	v_and_b32_e32 v0, 63, v0                                   // 000000002AE0: 260000BF
	s_mov_b32 s2, s2                                           // 000000002AE4: BE820002
	s_mov_b32 s3, s3                                           // 000000002AE8: BE830003
	s_mov_b32 s4, s4                                           // 000000002AEC: BE840004
	v_readfirstlane_b32 s7, v3                                 // 000000002AF0: 7E0E0503
	s_waitcnt lgkmcnt(0)                                       // 000000002AF4: BF8CC07F
	s_and_b32 s49, s49, 0xffff                                 // 000000002AF8: 8631FF31 0000FFFF
	s_load_dword s48, s[48:49], 0x0                            // 000000002B00: C0020C18 00000000
	s_and_b32 s45, s45, 0xffff                                 // 000000002B08: 862DFF2D 0000FFFF
	s_and_b32 s9, s9, 0xffff                                   // 000000002B10: 8609FF09 0000FFFF
	s_mul_i32 s60, s66, s68                                    // 000000002B18: 923C4442
	s_mul_i32 s61, s66, 4                                      // 000000002B1C: 923D8442
	s_mov_b32 s22, s60                                         // 000000002B20: BE96003C
	s_mov_b32 s26, -16                                         // 000000002B24: BE9A00D0
	s_mov_b32 s30, s61                                         // 000000002B28: BE9E003D
	s_mov_b32 s14, 64                                          // 000000002B2C: BE8E00C0
	s_mov_b32 s38, -16                                         // 000000002B30: BEA600D0
	s_mov_b32 s10, -16                                         // 000000002B34: BE8A00D0
	s_mov_b32 s34, 0x400                                       // 000000002B38: BEA200FF 00000400
	s_mov_b32 s23, 0x20000                                     // 000000002B40: BE9700FF 00020000
	s_mov_b32 s27, 0x20000                                     // 000000002B48: BE9B00FF 00020000
	s_mov_b32 s31, 0x20000                                     // 000000002B50: BE9F00FF 00020000
	s_mov_b32 s35, 0x20000                                     // 000000002B58: BEA300FF 00020000
	s_mov_b32 s15, 0x20000                                     // 000000002B60: BE8F00FF 00020000
	s_mov_b32 s39, 0x20000                                     // 000000002B68: BEA700FF 00020000
	s_mov_b32 s11, 0x20000                                     // 000000002B70: BE8B00FF 00020000
	s_and_b32 s21, s21, 0xffff                                 // 000000002B78: 8615FF15 0000FFFF
	s_and_b32 s25, s25, 0xffff                                 // 000000002B80: 8619FF19 0000FFFF
	s_and_b32 s29, s29, 0xffff                                 // 000000002B88: 861DFF1D 0000FFFF
	s_and_b32 s33, s33, 0xffff                                 // 000000002B90: 8621FF21 0000FFFF
	s_and_b32 s13, s13, 0xffff                                 // 000000002B98: 860DFF0D 0000FFFF
	s_and_b32 s37, s37, 0xffff                                 // 000000002BA0: 8625FF25 0000FFFF
	s_or_b32 s21, s21, 0x40000                                 // 000000002BA8: 8715FF15 00040000
	s_or_b32 s25, s25, 0x40000                                 // 000000002BB0: 8719FF19 00040000
	s_or_b32 s29, s29, 0x40000                                 // 000000002BB8: 871DFF1D 00040000
	s_or_b32 s33, s33, 0x40000                                 // 000000002BC0: 8721FF21 00040000
	s_or_b32 s13, s13, 0x40000                                 // 000000002BC8: 870DFF0D 00040000
	s_or_b32 s37, s37, 0x40000                                 // 000000002BD0: 8725FF25 00040000
	v_accvgpr_write_b32 a111, 0                                // 000000002BD8: D3D9406F 18000080
	v_mov_b32_e32 v71, 0                                       // 000000002BE0: 7E8E0280
	s_waitcnt lgkmcnt(0)                                       // 000000002BE4: BF8CC07F
	s_mul_i32 s60, s3, 16                                      // 000000002BE8: 923C9003
	s_cmp_lt_i32 s60, s48                                      // 000000002BEC: BF04303C
	s_cbranch_scc0 label_0FCD                                  // 000000002BF0: BF840F4D
	s_mov_b32 s80, 0                                           // 000000002BF4: BED00080
	s_lshr_b32 s81, s64, s88                                   // 000000002BF8: 8F515840
	s_mul_i32 s60, s3, 4                                       // 000000002BFC: 923C8403
	s_add_u32 s44, s60, s44                                    // 000000002C00: 802C2C3C
	s_addc_u32 s45, 0, s45                                     // 000000002C04: 822D2D80
	s_load_dword s5, s[44:45], 0x0                             // 000000002C08: C0020156 00000000
	s_mul_i32 s60, s3, 16                                      // 000000002C10: 923C9003
	s_mul_i32 s60, 4, s60                                      // 000000002C14: 923C3C84
	s_add_u32 s12, s60, s12                                    // 000000002C18: 800C0C3C
	s_addc_u32 s13, 0, s13                                     // 000000002C1C: 820D0D80
	v_and_b32_e32 v4, 15, v0                                   // 000000002C20: 2608008F
	v_lshlrev_b32_e32 v4, 2, v4                                // 000000002C24: 24080882
	buffer_load_dword v30, v4, s[12:15], 0 offen               // 000000002C28: E0501000 80031E04
	v_add_u32_e32 v4, 64, v4                                   // 000000002C30: 680808C0
	s_mul_i32 s60, 4, s7                                       // 000000002C34: 923C0784
	v_lshlrev_b32_e32 v4, 4, v0                                // 000000002C38: 24080084
	v_add_u32_e32 v4, s60, v4                                  // 000000002C3C: 6808083C
	buffer_load_dword v3, v4, s[12:15], 0 offen                // 000000002C40: E0501000 80030304
	v_mov_b32_e32 v40, 0                                       // 000000002C48: 7E500280
	v_mov_b32_e32 v56, 0                                       // 000000002C4C: 7E700280
	v_mov_b32_e32 v41, 0                                       // 000000002C50: 7E520280
	v_mov_b32_e32 v57, 0                                       // 000000002C54: 7E720280
	v_mov_b32_e32 v42, 0                                       // 000000002C58: 7E540280
	v_mov_b32_e32 v58, 0                                       // 000000002C5C: 7E740280
	v_mov_b32_e32 v43, 0                                       // 000000002C60: 7E560280
	v_mov_b32_e32 v59, 0                                       // 000000002C64: 7E760280
	v_mov_b32_e32 v44, 0                                       // 000000002C68: 7E580280
	v_mov_b32_e32 v60, 0                                       // 000000002C6C: 7E780280
	v_mov_b32_e32 v45, 0                                       // 000000002C70: 7E5A0280
	v_mov_b32_e32 v61, 0                                       // 000000002C74: 7E7A0280
	v_mov_b32_e32 v46, 0                                       // 000000002C78: 7E5C0280
	v_mov_b32_e32 v62, 0                                       // 000000002C7C: 7E7C0280
	v_mov_b32_e32 v47, 0                                       // 000000002C80: 7E5E0280
	v_mov_b32_e32 v63, 0                                       // 000000002C84: 7E7E0280
	v_mov_b32_e32 v48, 0                                       // 000000002C88: 7E600280
	v_mov_b32_e32 v64, 0                                       // 000000002C8C: 7E800280
	v_mov_b32_e32 v49, 0                                       // 000000002C90: 7E620280
	v_mov_b32_e32 v65, 0                                       // 000000002C94: 7E820280
	v_mov_b32_e32 v50, 0                                       // 000000002C98: 7E640280
	v_mov_b32_e32 v66, 0                                       // 000000002C9C: 7E840280
	v_mov_b32_e32 v51, 0                                       // 000000002CA0: 7E660280
	v_mov_b32_e32 v67, 0                                       // 000000002CA4: 7E860280
	v_mov_b32_e32 v52, 0                                       // 000000002CA8: 7E680280
	v_mov_b32_e32 v68, 0                                       // 000000002CAC: 7E880280
	v_mov_b32_e32 v53, 0                                       // 000000002CB0: 7E6A0280
	v_mov_b32_e32 v69, 0                                       // 000000002CB4: 7E8A0280
	v_mov_b32_e32 v54, 0                                       // 000000002CB8: 7E6C0280
	v_mov_b32_e32 v70, 0                                       // 000000002CBC: 7E8C0280
	v_mov_b32_e32 v55, 0                                       // 000000002CC0: 7E6E0280
	v_mov_b32_e32 v71, 0                                       // 000000002CC4: 7E8E0280
	s_mul_i32 s60, s2, 0x200                                   // 000000002CC8: 923CFF02 00000200
	s_cmp_eq_u32 s88, 0                                        // 000000002CD0: BF068058
	s_cselect_b32 s61, 1, 2                                    // 000000002CD4: 853D8281
	s_mul_i32 s60, s60, s61                                    // 000000002CD8: 923C3D3C
	s_mov_b32 s90, s8                                          // 000000002CDC: BEDA0008
	s_mov_b32 s91, s9                                          // 000000002CE0: BEDB0009
	s_add_u32 s8, s60, s8                                      // 000000002CE4: 8008083C
	s_addc_u32 s9, 0, s9                                       // 000000002CE8: 82090980
	v_lshrrev_b32_e32 v4, 4, v0                                // 000000002CEC: 20080084
	v_mul_lo_u32 v20, 34, v4                                   // 000000002CF0: D2850014 000208A2
	v_and_b32_e32 v4, 15, v0                                   // 000000002CF8: 2608008F
	v_mul_lo_u32 v5, 2, v4                                     // 000000002CFC: D2850005 00020882
	v_add_u32_e32 v20, v5, v20                                 // 000000002D04: 68282905
	s_mul_i32 s60, s7, 0x88                                    // 000000002D08: 923CFF07 00000088
	v_add_u32_e32 v20, s60, v20                                // 000000002D10: 6828283C
	v_lshlrev_b32_e32 v20, 2, v20                              // 000000002D14: 24282882
	v_and_b32_e32 v4, 31, v0                                   // 000000002D18: 2608009F
	v_lshrrev_b32_e32 v4, 1, v4                                // 000000002D1C: 20080881
	v_mul_lo_u32 v21, 34, v4                                   // 000000002D20: D2850015 000208A2
	v_lshrrev_b32_e32 v4, 5, v0                                // 000000002D28: 20080085
	v_mul_lo_u32 v4, 8, v4                                     // 000000002D2C: D2850004 00020888
	v_add_u32_e32 v21, v21, v4                                 // 000000002D34: 682A0915
	v_and_b32_e32 v5, 1, v0                                    // 000000002D38: 260A0081
	v_add_u32_e32 v21, v5, v21                                 // 000000002D3C: 682A2B05
	s_mul_i32 s60, s7, 2                                       // 000000002D40: 923C8207
	v_add_u32_e32 v21, s60, v21                                // 000000002D44: 682A2A3C
	v_lshlrev_b32_e32 v21, 2, v21                              // 000000002D48: 242A2A82
	s_mul_i32 s60, s7, 0x220                                   // 000000002D4C: 923CFF07 00000220
	s_add_u32 s48, 0, s60                                      // 000000002D54: 80303C80
	s_add_u32 s49, 0x880, s48                                  // 000000002D58: 803130FF 00000880
	s_add_u32 s50, 0x880, s49                                  // 000000002D60: 803231FF 00000880
	v_lshrrev_b32_e32 v4, 4, v0                                // 000000002D68: 20080084
	v_lshlrev_b32_e32 v5, 2, v4                                // 000000002D6C: 240A0882
	v_and_b32_e32 v4, 15, v0                                   // 000000002D70: 2608008F
	v_lshrrev_b32_e32 v6, 2, v4                                // 000000002D74: 200C0882
	v_lshlrev_b32_e32 v6, 5, v6                                // 000000002D78: 240C0C85
	v_add_u32_e32 v5, v6, v5                                   // 000000002D7C: 680A0B06
	v_and_b32_e32 v4, 3, v0                                    // 000000002D80: 26080083
	v_mul_u32_u24_e32 v6, 0x88, v4                             // 000000002D84: 100C08FF 00000088
	v_add_u32_e32 v5, v6, v5                                   // 000000002D8C: 680A0B06
	v_lshlrev_b32_e32 v2, 2, v5                                // 000000002D90: 24040A82
	s_waitcnt lgkmcnt(0)                                       // 000000002D94: BF8CC07F
	s_mul_i32 s60, s2, 0x100                                   // 000000002D98: 923CFF02 00000100
	s_mul_i32 s60, s60, s69                                    // 000000002DA0: 923C453C
	s_mul_i32 s61, s5, s72                                     // 000000002DA4: 923D4805
	s_add_u32 s60, s61, s60                                    // 000000002DA8: 803C3C3D
	s_add_u32 s24, s60, s24                                    // 000000002DAC: 8018183C
	s_addc_u32 s25, 0, s25                                     // 000000002DB0: 82191980
	s_lshr_b32 s60, s64, s88                                   // 000000002DB4: 8F3C5840
	s_mul_i32 s60, s4, s60                                     // 000000002DB8: 923C3C04
	s_lshr_b32 s60, s60, 7                                     // 000000002DBC: 8F3C873C
	s_mul_i32 s60, s60, 0x800                                  // 000000002DC0: 923CFF3C 00000800
	s_add_u32 s24, s60, s24                                    // 000000002DC8: 8018183C
	s_addc_u32 s25, 0, s25                                     // 000000002DCC: 82191980
	s_lshr_b32 s60, s69, s88                                   // 000000002DD0: 8F3C5845
	s_mul_i32 s60, s4, s60                                     // 000000002DD4: 923C3C04
	s_add_u32 s20, s60, s20                                    // 000000002DD8: 8014143C
	s_addc_u32 s21, 0, s21                                     // 000000002DDC: 82151580
	s_mul_i32 s60, s7, 16                                      // 000000002DE0: 923C9007
	s_mul_i32 s60, s60, s69                                    // 000000002DE4: 923C453C
	v_lshlrev_b32_e32 v36, 4, v0                               // 000000002DE8: 24480084
	v_add_u32_e32 v36, s60, v36                                // 000000002DEC: 6848483C
	s_mul_i32 s60, 64, s69                                     // 000000002DF0: 923C45C0
	v_add_u32_e32 v37, s60, v36                                // 000000002DF4: 684A483C
	v_add_u32_e32 v38, s60, v37                                // 000000002DF8: 684C4A3C
	v_add_u32_e32 v39, s60, v38                                // 000000002DFC: 684E4C3C
	s_mov_b32 s84, s24                                         // 000000002E00: BED40018
	s_mov_b32 s85, s25                                         // 000000002E04: BED50019
	s_mov_b32 s86, s26                                         // 000000002E08: BED6001A
	s_mov_b32 s87, s27                                         // 000000002E0C: BED7001B
	s_mul_i32 s60, s69, s65                                    // 000000002E10: 923C4145
	s_add_u32 s84, s60, s84                                    // 000000002E14: 8054543C
	s_addc_u32 s85, 0, s85                                     // 000000002E18: 82555580
	v_lshrrev_b32_e32 v4, 4, v0                                // 000000002E1C: 20080084
	v_lshlrev_b32_e32 v5, 2, v4                                // 000000002E20: 240A0882
	v_and_b32_e32 v4, 15, v0                                   // 000000002E24: 2608008F
	v_lshrrev_b32_e32 v6, 2, v4                                // 000000002E28: 200C0882
	v_lshlrev_b32_e32 v6, 6, v6                                // 000000002E2C: 240C0C86
	v_add_u32_e32 v5, v6, v5                                   // 000000002E30: 680A0B06
	v_and_b32_e32 v4, 3, v0                                    // 000000002E34: 26080083
	v_add_u32_e32 v5, v4, v5                                   // 000000002E38: 680A0B04
	v_lshlrev_b32_e32 v22, 2, v5                               // 000000002E3C: 242C0A82
	s_mul_i32 s60, s7, 16                                      // 000000002E40: 923C9007
	s_mul_i32 s60, s60, 4                                      // 000000002E44: 923C843C
	v_add_u32_e32 v22, s60, v22                                // 000000002E48: 682C2C3C
	s_mul_i32 s60, s2, 0x100                                   // 000000002E4C: 923CFF02 00000100
	s_mul_i32 s60, s60, 4                                      // 000000002E54: 923C843C
	s_mul_i32 s61, s5, s74                                     // 000000002E58: 923D4A05
	s_add_u32 s61, s61, s60                                    // 000000002E5C: 803D3C3D
	s_add_u32 s32, s61, s32                                    // 000000002E60: 8020203D
	s_addc_u32 s33, 0, s33                                     // 000000002E64: 82212180
	s_mov_b32 s57, 0x80                                        // 000000002E68: BEB900FF 00000080
	s_mov_b32 s58, 0x800                                       // 000000002E70: BEBA00FF 00000800
	s_mov_b32 s83, s58                                         // 000000002E78: BED3003A
	s_mov_b32 s52, 0x7060302                                   // 000000002E7C: BEB400FF 07060302
	s_mov_b32 s53, 0x400                                       // 000000002E84: BEB500FF 00000400
	s_mov_b32 s54, 0x40100                                     // 000000002E8C: BEB600FF 00040100
	s_mov_b32 s55, 0x4020100                                   // 000000002E94: BEB700FF 04020100
	s_mov_b32 s6, 0x3fb8aa3b                                   // 000000002E9C: BE8600FF 3FB8AA3B
	s_mov_b32 s78, 0xbd92220c                                  // 000000002EA4: BECE00FF BD92220C
	s_mov_b32 s79, 0xbd92220c                                  // 000000002EAC: BECF00FF BD92220C
	s_mov_b32 m0, s48                                          // 000000002EB4: BEFC0030
	v_mov_b32_e32 v1, 0xbfcc4231                               // 000000002EB8: 7E0202FF BFCC4231
	v_mov_b32_e32 v17, 0xffff0000                              // 000000002EC0: 7E2202FF FFFF0000
	v_mov_b32_e32 v18, 0x7fff0000                              // 000000002EC8: 7E2402FF 7FFF0000
	v_mov_b32_e32 v19, 0x7fff                                  // 000000002ED0: 7E2602FF 00007FFF
	s_waitcnt vmcnt(0) expcnt(0) lgkmcnt(0)                    // 000000002ED8: BF8C0000
	v_lshrrev_b32_e32 v4, 5, v0                                // 000000002EDC: 20080085
	v_xor_b32_e32 v5, 1, v4                                    // 000000002EE0: 2A0A0881
	v_readlane_b32 s82, v3, 0                                  // 000000002EE4: D2890052 00010103
	s_and_b32 s82, s82, 0xffffff                               // 000000002EEC: 8652FF52 00FFFFFF
	v_mul_lo_u32 v6, v5, s82                                   // 000000002EF4: D2850006 0000A505
	v_readlane_b32 s82, v3, 1                                  // 000000002EFC: D2890052 00010303
	s_and_b32 s82, s82, 0xffffff                               // 000000002F04: 8652FF52 00FFFFFF
	v_mul_lo_u32 v7, v4, s82                                   // 000000002F0C: D2850007 0000A504
	v_add_u32_e32 v34, v6, v7                                  // 000000002F14: 68440F06
	v_mul_lo_u32 v34, v34, s68                                 // 000000002F18: D2850022 00008922
	v_readlane_b32 s82, v3, 2                                  // 000000002F20: D2890052 00010503
	s_and_b32 s82, s82, 0xffffff                               // 000000002F28: 8652FF52 00FFFFFF
	v_mul_lo_u32 v6, v5, s82                                   // 000000002F30: D2850006 0000A505
	v_readlane_b32 s82, v3, 3                                  // 000000002F38: D2890052 00010703
	s_and_b32 s82, s82, 0xffffff                               // 000000002F40: 8652FF52 00FFFFFF
	v_mul_lo_u32 v7, v4, s82                                   // 000000002F48: D2850007 0000A504
	v_add_u32_e32 v35, v6, v7                                  // 000000002F50: 68460F06
	v_mul_lo_u32 v35, v35, s68                                 // 000000002F54: D2850023 00008923
	v_and_b32_e32 v4, 31, v0                                   // 000000002F5C: 2608009F
	v_lshlrev_b32_e32 v4, 2, v4                                // 000000002F60: 24080882
	v_add_u32_e32 v34, v34, v4                                 // 000000002F64: 68440922
	v_add_u32_e32 v35, v35, v4                                 // 000000002F68: 68460923
	v_and_b32_e32 v30, 0xffffff, v30                           // 000000002F6C: 263C3CFF 00FFFFFF
	v_lshlrev_b32_e32 v30, 2, v30                              // 000000002F74: 243C3C82
	s_lshl_b32 s3, s66, 2                                      // 000000002F78: 8E038242
	buffer_load_dword v31, v30, s[28:31], 0 offen              // 000000002F7C: E0501000 80071F1E
	buffer_load_dword v24, v22, s[32:35], 0 offen              // 000000002F84: E0501000 80081816
	s_mul_i32 s60, 4, s65                                      // 000000002F8C: 923C4184
	s_add_u32 s32, s60, s32                                    // 000000002F90: 8020203C
	s_addc_u32 s33, 0, s33                                     // 000000002F94: 82212180
	buffer_load_dword v27, v22, s[32:35], 0 offen              // 000000002F98: E0501000 80081B16
	buffer_load_dword v34, s[20:23], 0 offen lds               // 000000002FA0: E0511000 80050022
	s_add_u32 m0, 0x100, s48                                   // 000000002FA8: 807C30FF 00000100
	buffer_load_dword v35, s[20:23], 0 offen lds               // 000000002FB0: E0511000 80050023
	s_add_u32 m0, 0, s49                                       // 000000002FB8: 807C3180
	s_add_u32 s20, s57, s20                                    // 000000002FBC: 80141439
	s_addc_u32 s21, 0, s21                                     // 000000002FC0: 82151580
	buffer_load_dwordx4 a[16:19], v36, s[24:27], 0 offen       // 000000002FC4: E05C1000 80861024
	buffer_load_dwordx4 a[20:23], v36, s[24:27], 0 offen offset:1024// 000000002FCC: E05C1400 80861424
	buffer_load_dwordx4 a[24:27], v37, s[24:27], 0 offen       // 000000002FD4: E05C1000 80861825
	buffer_load_dwordx4 a[28:31], v37, s[24:27], 0 offen offset:1024// 000000002FDC: E05C1400 80861C25
	buffer_load_dwordx4 a[32:35], v38, s[24:27], 0 offen       // 000000002FE4: E05C1000 80862026
	buffer_load_dwordx4 a[36:39], v38, s[24:27], 0 offen offset:1024// 000000002FEC: E05C1400 80862426
	buffer_load_dwordx4 a[40:43], v39, s[24:27], 0 offen       // 000000002FF4: E05C1000 80862827
	buffer_load_dwordx4 a[44:47], v39, s[24:27], 0 offen offset:1024// 000000002FFC: E05C1400 80862C27
	s_add_u32 s24, s58, s24                                    // 000000003004: 8018183A
	s_addc_u32 s25, 0, s25                                     // 000000003008: 82191980
	buffer_load_dword v34, s[20:23], 0 offen lds               // 00000000300C: E0511000 80050022
	s_add_u32 m0, 0x100, s49                                   // 000000003014: 807C31FF 00000100
	buffer_load_dword v35, s[20:23], 0 offen lds               // 00000000301C: E0511000 80050023
	s_add_u32 m0, 0, s50                                       // 000000003024: 807C3280
	s_add_u32 s20, s57, s20                                    // 000000003028: 80141439
	s_addc_u32 s21, 0, s21                                     // 00000000302C: 82151580
	buffer_load_dwordx4 a[48:51], v36, s[84:87], 0 offen       // 000000003030: E05C1000 80953024
	buffer_load_dwordx4 a[52:55], v36, s[84:87], 0 offen offset:1024// 000000003038: E05C1400 80953424
	buffer_load_dwordx4 a[56:59], v37, s[84:87], 0 offen       // 000000003040: E05C1000 80953825
	buffer_load_dwordx4 a[60:63], v37, s[84:87], 0 offen offset:1024// 000000003048: E05C1400 80953C25
	buffer_load_dwordx4 a[64:67], v38, s[84:87], 0 offen       // 000000003050: E05C1000 80954026
	buffer_load_dwordx4 a[68:71], v38, s[84:87], 0 offen offset:1024// 000000003058: E05C1400 80954426
	buffer_load_dwordx4 a[72:75], v39, s[84:87], 0 offen       // 000000003060: E05C1000 80954827
	buffer_load_dwordx4 a[76:79], v39, s[84:87], 0 offen offset:1024// 000000003068: E05C1400 80954C27
	s_add_u32 s84, s83, s84                                    // 000000003070: 80545453
	s_addc_u32 s85, 0, s85                                     // 000000003074: 82555580
	s_waitcnt vmcnt(18)                                        // 000000003078: BF8C4F72
	s_barrier                                                  // 00000000307C: BF8A0000
	ds_read_b128 a[0:3], v2                                    // 000000003080: DBFE0000 00000002
	ds_read_b128 a[4:7], v2 offset:64                          // 000000003088: DBFE0040 04000002
	s_cmp_lt_i32 s7, 2                                         // 000000003090: BF048207
	s_cbranch_scc0 label_08BB                                  // 000000003094: BF840712

0000000000003098 <label_01A6>:
	s_waitcnt vmcnt(10) lgkmcnt(0)                             // 000000003098: BF8C007A
	v_mfma_f32_16x16x32_fp8_fp8 v[40:43], a[16:17], a[0:1], v[40:43]// 00000000309C: D3F30028 1CA20110
	v_mfma_f32_16x16x32_fp8_fp8 v[40:43], a[18:19], a[2:3], v[40:43]// 0000000030A4: D3F30028 1CA20512
	buffer_load_dwordx4 a[80:83], v36, s[24:27], 0 offen       // 0000000030AC: E05C1000 80865024
	v_mfma_f32_16x16x32_fp8_fp8 v[40:43], a[20:21], a[4:5], v[40:43]// 0000000030B4: D3F30028 1CA20914
	v_mfma_f32_16x16x32_fp8_fp8 v[40:43], a[22:23], a[6:7], v[40:43]// 0000000030BC: D3F30028 1CA20D16
	v_mfma_f32_16x16x32_fp8_fp8 v[44:47], a[24:25], a[0:1], v[44:47]// 0000000030C4: D3F3002C 1CB20118
	v_mfma_f32_16x16x32_fp8_fp8 v[44:47], a[26:27], a[2:3], v[44:47]// 0000000030CC: D3F3002C 1CB2051A
	buffer_load_dwordx4 a[84:87], v36, s[24:27], 0 offen offset:1024// 0000000030D4: E05C1400 80865424
	v_mfma_f32_16x16x32_fp8_fp8 v[44:47], a[28:29], a[4:5], v[44:47]// 0000000030DC: D3F3002C 1CB2091C
	v_mfma_f32_16x16x32_fp8_fp8 v[44:47], a[30:31], a[6:7], v[44:47]// 0000000030E4: D3F3002C 1CB20D1E
	v_mfma_f32_16x16x32_fp8_fp8 v[48:51], a[32:33], a[0:1], v[48:51]// 0000000030EC: D3F30030 1CC20120
	v_mfma_f32_16x16x32_fp8_fp8 v[48:51], a[34:35], a[2:3], v[48:51]// 0000000030F4: D3F30030 1CC20522
	buffer_load_dwordx4 a[88:91], v37, s[24:27], 0 offen       // 0000000030FC: E05C1000 80865825
	v_mfma_f32_16x16x32_fp8_fp8 v[48:51], a[36:37], a[4:5], v[48:51]// 000000003104: D3F30030 1CC20924
	v_mfma_f32_16x16x32_fp8_fp8 v[48:51], a[38:39], a[6:7], v[48:51]// 00000000310C: D3F30030 1CC20D26
	v_mfma_f32_16x16x32_fp8_fp8 v[52:55], a[40:41], a[0:1], v[52:55]// 000000003114: D3F30034 1CD20128
	v_mfma_f32_16x16x32_fp8_fp8 v[52:55], a[42:43], a[2:3], v[52:55]// 00000000311C: D3F30034 1CD2052A
	buffer_load_dwordx4 a[92:95], v37, s[24:27], 0 offen offset:1024// 000000003124: E05C1400 80865C25
	v_mfma_f32_16x16x32_fp8_fp8 v[52:55], a[44:45], a[4:5], v[52:55]// 00000000312C: D3F30034 1CD2092C
	v_mfma_f32_16x16x32_fp8_fp8 v[52:55], a[46:47], a[6:7], v[52:55]// 000000003134: D3F30034 1CD20D2E
	buffer_load_dwordx4 a[96:99], v38, s[24:27], 0 offen       // 00000000313C: E05C1000 80866026
	buffer_load_dwordx4 a[100:103], v38, s[24:27], 0 offen offset:1024// 000000003144: E05C1400 80866426
	buffer_load_dwordx4 a[104:107], v39, s[24:27], 0 offen     // 00000000314C: E05C1000 80866827
	buffer_load_dwordx4 a[108:111], v39, s[24:27], 0 offen offset:1024// 000000003154: E05C1400 80866C27
	buffer_load_dword v34, s[20:23], 0 offen lds               // 00000000315C: E0511000 80050022
	s_add_u32 m0, 0x100, s50                                   // 000000003164: 807C32FF 00000100
	buffer_load_dword v35, s[20:23], 0 offen lds               // 00000000316C: E0511000 80050023
	s_add_u32 m0, 0, s48                                       // 000000003174: 807C3080
	s_waitcnt vmcnt(10)                                        // 000000003178: BF8C0F7A
	s_barrier                                                  // 00000000317C: BF8A0000
	v_mfma_f32_16x16x32_fp8_fp8 v[56:59], a[48:49], a[0:1], v[56:59]// 000000003180: D3F30038 1CE20130
	v_mfma_f32_16x16x32_fp8_fp8 v[56:59], a[50:51], a[2:3], v[56:59]// 000000003188: D3F30038 1CE20532
	buffer_load_dwordx4 a[16:19], v36, s[84:87], 0 offen       // 000000003190: E05C1000 80951024
	v_mfma_f32_16x16x32_fp8_fp8 v[56:59], a[52:53], a[4:5], v[56:59]// 000000003198: D3F30038 1CE20934
	v_mfma_f32_16x16x32_fp8_fp8 v[56:59], a[54:55], a[6:7], v[56:59]// 0000000031A0: D3F30038 1CE20D36
	ds_read_b128 a[8:11], v2 offset:2176                       // 0000000031A8: DBFE0880 08000002
	ds_read_b128 a[12:15], v2 offset:2240                      // 0000000031B0: DBFE08C0 0C000002
	v_mfma_f32_16x16x32_fp8_fp8 v[60:63], a[56:57], a[0:1], v[60:63]// 0000000031B8: D3F3003C 1CF20138
	v_mfma_f32_16x16x32_fp8_fp8 v[60:63], a[58:59], a[2:3], v[60:63]// 0000000031C0: D3F3003C 1CF2053A
	buffer_load_dwordx4 a[20:23], v36, s[84:87], 0 offen offset:1024// 0000000031C8: E05C1400 80951424
	v_mfma_f32_16x16x32_fp8_fp8 v[60:63], a[60:61], a[4:5], v[60:63]// 0000000031D0: D3F3003C 1CF2093C
	v_mfma_f32_16x16x32_fp8_fp8 v[60:63], a[62:63], a[6:7], v[60:63]// 0000000031D8: D3F3003C 1CF20D3E
	v_mfma_f32_16x16x32_fp8_fp8 v[64:67], a[64:65], a[0:1], v[64:67]// 0000000031E0: D3F30040 1D020140
	s_add_u32 s60, 0x180, s80                                  // 0000000031E8: 803C50FF 00000180
	s_cmp_lt_u32 s60, s81                                      // 0000000031F0: BF0A513C
	s_cselect_b32 s57, s57, 0                                  // 0000000031F4: 85398039
	v_mfma_f32_16x16x32_fp8_fp8 v[64:67], a[66:67], a[2:3], v[64:67]// 0000000031F8: D3F30040 1D020542
	buffer_load_dwordx4 a[24:27], v37, s[84:87], 0 offen       // 000000003200: E05C1000 80951825
	s_add_u32 s60, 0x100, s80                                  // 000000003208: 803C50FF 00000100
	s_cmp_lt_u32 s60, s81                                      // 000000003210: BF0A513C
	s_cselect_b32 s58, s58, 0                                  // 000000003214: 853A803A
	v_mfma_f32_16x16x32_fp8_fp8 v[64:67], a[68:69], a[4:5], v[64:67]// 000000003218: D3F30040 1D020944
	s_add_u32 s60, 0x100, s80                                  // 000000003220: 803C50FF 00000100
	s_cmp_lt_u32 s60, s81                                      // 000000003228: BF0A513C
	s_cselect_b32 s83, s83, 0                                  // 00000000322C: 85538053
	v_mfma_f32_16x16x32_fp8_fp8 v[64:67], a[70:71], a[6:7], v[64:67]// 000000003230: D3F30040 1D020D46
	s_add_u32 s24, s58, s24                                    // 000000003238: 8018183A
	s_addc_u32 s25, 0, s25                                     // 00000000323C: 82191980
	v_mfma_f32_16x16x32_fp8_fp8 v[68:71], a[72:73], a[0:1], v[68:71]// 000000003240: D3F30044 1D120148
	s_add_u32 s20, s57, s20                                    // 000000003248: 80141439
	s_addc_u32 s21, 0, s21                                     // 00000000324C: 82151580
	v_mfma_f32_16x16x32_fp8_fp8 v[68:71], a[74:75], a[2:3], v[68:71]// 000000003250: D3F30044 1D12054A
	buffer_load_dwordx4 a[28:31], v37, s[84:87], 0 offen offset:1024// 000000003258: E05C1400 80951C25
	v_mfma_f32_16x16x32_fp8_fp8 v[68:71], a[76:77], a[4:5], v[68:71]// 000000003260: D3F30044 1D12094C
	v_mfma_f32_16x16x32_fp8_fp8 v[68:71], a[78:79], a[6:7], v[68:71]// 000000003268: D3F30044 1D120D4E
	buffer_load_dwordx4 a[32:35], v38, s[84:87], 0 offen       // 000000003270: E05C1000 80952026
	buffer_load_dwordx4 a[36:39], v38, s[84:87], 0 offen offset:1024// 000000003278: E05C1400 80952426
	buffer_load_dwordx4 a[40:43], v39, s[84:87], 0 offen       // 000000003280: E05C1000 80952827
	buffer_load_dwordx4 a[44:47], v39, s[84:87], 0 offen offset:1024// 000000003288: E05C1400 80952C27
	s_add_u32 s84, s83, s84                                    // 000000003290: 80545453
	s_addc_u32 s85, 0, s85                                     // 000000003294: 82555580
	s_addk_i32 s80, 0x80                                       // 000000003298: B7500080
	s_cmp_lt_i32 s80, s81                                      // 00000000329C: BF045150
	s_cbranch_scc0 label_04B9                                  // 0000000032A0: BF840290
	s_waitcnt vmcnt(10) lgkmcnt(0)                             // 0000000032A4: BF8C007A
	v_mfma_f32_16x16x32_fp8_fp8 v[40:43], a[80:81], a[8:9], v[40:43]// 0000000032A8: D3F30028 1CA21150
	v_mfma_f32_16x16x32_fp8_fp8 v[40:43], a[82:83], a[10:11], v[40:43]// 0000000032B0: D3F30028 1CA21552
	buffer_load_dwordx4 a[48:51], v36, s[24:27], 0 offen       // 0000000032B8: E05C1000 80863024
	v_mfma_f32_16x16x32_fp8_fp8 v[40:43], a[84:85], a[12:13], v[40:43]// 0000000032C0: D3F30028 1CA21954
	v_mfma_f32_16x16x32_fp8_fp8 v[40:43], a[86:87], a[14:15], v[40:43]// 0000000032C8: D3F30028 1CA21D56
	v_mfma_f32_16x16x32_fp8_fp8 v[44:47], a[88:89], a[8:9], v[44:47]// 0000000032D0: D3F3002C 1CB21158
	v_mfma_f32_16x16x32_fp8_fp8 v[44:47], a[90:91], a[10:11], v[44:47]// 0000000032D8: D3F3002C 1CB2155A
	buffer_load_dwordx4 a[52:55], v36, s[24:27], 0 offen offset:1024// 0000000032E0: E05C1400 80863424
	v_mfma_f32_16x16x32_fp8_fp8 v[44:47], a[92:93], a[12:13], v[44:47]// 0000000032E8: D3F3002C 1CB2195C
	v_mfma_f32_16x16x32_fp8_fp8 v[44:47], a[94:95], a[14:15], v[44:47]// 0000000032F0: D3F3002C 1CB21D5E
	v_mfma_f32_16x16x32_fp8_fp8 v[48:51], a[96:97], a[8:9], v[48:51]// 0000000032F8: D3F30030 1CC21160
	v_mfma_f32_16x16x32_fp8_fp8 v[48:51], a[98:99], a[10:11], v[48:51]// 000000003300: D3F30030 1CC21562
	buffer_load_dwordx4 a[56:59], v37, s[24:27], 0 offen       // 000000003308: E05C1000 80863825
	v_mfma_f32_16x16x32_fp8_fp8 v[48:51], a[100:101], a[12:13], v[48:51]// 000000003310: D3F30030 1CC21964
	v_mfma_f32_16x16x32_fp8_fp8 v[48:51], a[102:103], a[14:15], v[48:51]// 000000003318: D3F30030 1CC21D66
	v_mfma_f32_16x16x32_fp8_fp8 v[52:55], a[104:105], a[8:9], v[52:55]// 000000003320: D3F30034 1CD21168
	v_mfma_f32_16x16x32_fp8_fp8 v[52:55], a[106:107], a[10:11], v[52:55]// 000000003328: D3F30034 1CD2156A
	buffer_load_dwordx4 a[60:63], v37, s[24:27], 0 offen offset:1024// 000000003330: E05C1400 80863C25
	v_mfma_f32_16x16x32_fp8_fp8 v[52:55], a[108:109], a[12:13], v[52:55]// 000000003338: D3F30034 1CD2196C
	v_mfma_f32_16x16x32_fp8_fp8 v[52:55], a[110:111], a[14:15], v[52:55]// 000000003340: D3F30034 1CD21D6E
	buffer_load_dwordx4 a[64:67], v38, s[24:27], 0 offen       // 000000003348: E05C1000 80864026
	buffer_load_dwordx4 a[68:71], v38, s[24:27], 0 offen offset:1024// 000000003350: E05C1400 80864426
	buffer_load_dwordx4 a[72:75], v39, s[24:27], 0 offen       // 000000003358: E05C1000 80864827
	buffer_load_dwordx4 a[76:79], v39, s[24:27], 0 offen offset:1024// 000000003360: E05C1400 80864C27
	buffer_load_dword v34, s[20:23], 0 offen lds               // 000000003368: E0511000 80050022
	s_add_u32 m0, 0x100, s48                                   // 000000003370: 807C30FF 00000100
	buffer_load_dword v35, s[20:23], 0 offen lds               // 000000003378: E0511000 80050023
	s_add_u32 m0, 0, s49                                       // 000000003380: 807C3180
	s_waitcnt vmcnt(10)                                        // 000000003384: BF8C0F7A
	s_barrier                                                  // 000000003388: BF8A0000
	v_mfma_f32_16x16x32_fp8_fp8 v[56:59], a[16:17], a[8:9], v[56:59]// 00000000338C: D3F30038 1CE21110
	v_mfma_f32_16x16x32_fp8_fp8 v[56:59], a[18:19], a[10:11], v[56:59]// 000000003394: D3F30038 1CE21512
	buffer_load_dwordx4 a[80:83], v36, s[84:87], 0 offen       // 00000000339C: E05C1000 80955024
	v_mfma_f32_16x16x32_fp8_fp8 v[56:59], a[20:21], a[12:13], v[56:59]// 0000000033A4: D3F30038 1CE21914
	v_mfma_f32_16x16x32_fp8_fp8 v[56:59], a[22:23], a[14:15], v[56:59]// 0000000033AC: D3F30038 1CE21D16
	ds_read_b128 a[0:3], v2 offset:4352                        // 0000000033B4: DBFE1100 00000002
	ds_read_b128 a[4:7], v2 offset:4416                        // 0000000033BC: DBFE1140 04000002
	v_mfma_f32_16x16x32_fp8_fp8 v[60:63], a[24:25], a[8:9], v[60:63]// 0000000033C4: D3F3003C 1CF21118
	v_mfma_f32_16x16x32_fp8_fp8 v[60:63], a[26:27], a[10:11], v[60:63]// 0000000033CC: D3F3003C 1CF2151A
	buffer_load_dwordx4 a[84:87], v36, s[84:87], 0 offen offset:1024// 0000000033D4: E05C1400 80955424
	v_mfma_f32_16x16x32_fp8_fp8 v[60:63], a[28:29], a[12:13], v[60:63]// 0000000033DC: D3F3003C 1CF2191C
	v_mfma_f32_16x16x32_fp8_fp8 v[60:63], a[30:31], a[14:15], v[60:63]// 0000000033E4: D3F3003C 1CF21D1E
	v_mfma_f32_16x16x32_fp8_fp8 v[64:67], a[32:33], a[8:9], v[64:67]// 0000000033EC: D3F30040 1D021120
	s_add_u32 s60, 0x180, s80                                  // 0000000033F4: 803C50FF 00000180
	s_cmp_lt_u32 s60, s81                                      // 0000000033FC: BF0A513C
	s_cselect_b32 s57, s57, 0                                  // 000000003400: 85398039
	v_mfma_f32_16x16x32_fp8_fp8 v[64:67], a[34:35], a[10:11], v[64:67]// 000000003404: D3F30040 1D021522
	buffer_load_dwordx4 a[88:91], v37, s[84:87], 0 offen       // 00000000340C: E05C1000 80955825
	s_add_u32 s60, 0x100, s80                                  // 000000003414: 803C50FF 00000100
	s_cmp_lt_u32 s60, s81                                      // 00000000341C: BF0A513C
	s_cselect_b32 s58, s58, 0                                  // 000000003420: 853A803A
	v_mfma_f32_16x16x32_fp8_fp8 v[64:67], a[36:37], a[12:13], v[64:67]// 000000003424: D3F30040 1D021924
	s_add_u32 s60, 0x100, s80                                  // 00000000342C: 803C50FF 00000100
	s_cmp_lt_u32 s60, s81                                      // 000000003434: BF0A513C
	s_cselect_b32 s83, s83, 0                                  // 000000003438: 85538053
	v_mfma_f32_16x16x32_fp8_fp8 v[64:67], a[38:39], a[14:15], v[64:67]// 00000000343C: D3F30040 1D021D26
	s_add_u32 s24, s58, s24                                    // 000000003444: 8018183A
	s_addc_u32 s25, 0, s25                                     // 000000003448: 82191980
	v_mfma_f32_16x16x32_fp8_fp8 v[68:71], a[40:41], a[8:9], v[68:71]// 00000000344C: D3F30044 1D121128
	s_add_u32 s20, s57, s20                                    // 000000003454: 80141439
	s_addc_u32 s21, 0, s21                                     // 000000003458: 82151580
	v_mfma_f32_16x16x32_fp8_fp8 v[68:71], a[42:43], a[10:11], v[68:71]// 00000000345C: D3F30044 1D12152A
	buffer_load_dwordx4 a[92:95], v37, s[84:87], 0 offen offset:1024// 000000003464: E05C1400 80955C25
	v_mfma_f32_16x16x32_fp8_fp8 v[68:71], a[44:45], a[12:13], v[68:71]// 00000000346C: D3F30044 1D12192C
	v_mfma_f32_16x16x32_fp8_fp8 v[68:71], a[46:47], a[14:15], v[68:71]// 000000003474: D3F30044 1D121D2E
	buffer_load_dwordx4 a[96:99], v38, s[84:87], 0 offen       // 00000000347C: E05C1000 80956026
	buffer_load_dwordx4 a[100:103], v38, s[84:87], 0 offen offset:1024// 000000003484: E05C1400 80956426
	buffer_load_dwordx4 a[104:107], v39, s[84:87], 0 offen     // 00000000348C: E05C1000 80956827
	buffer_load_dwordx4 a[108:111], v39, s[84:87], 0 offen offset:1024// 000000003494: E05C1400 80956C27
	s_add_u32 s84, s83, s84                                    // 00000000349C: 80545453
	s_addc_u32 s85, 0, s85                                     // 0000000034A0: 82555580
	s_addk_i32 s80, 0x80                                       // 0000000034A4: B7500080
	s_cmp_lt_i32 s80, s81                                      // 0000000034A8: BF045150
	s_cbranch_scc0 label_04B9                                  // 0000000034AC: BF84020D
	s_waitcnt vmcnt(10) lgkmcnt(0)                             // 0000000034B0: BF8C007A
	v_mfma_f32_16x16x32_fp8_fp8 v[40:43], a[48:49], a[0:1], v[40:43]// 0000000034B4: D3F30028 1CA20130
	v_mfma_f32_16x16x32_fp8_fp8 v[40:43], a[50:51], a[2:3], v[40:43]// 0000000034BC: D3F30028 1CA20532
	buffer_load_dwordx4 a[16:19], v36, s[24:27], 0 offen       // 0000000034C4: E05C1000 80861024
	v_mfma_f32_16x16x32_fp8_fp8 v[40:43], a[52:53], a[4:5], v[40:43]// 0000000034CC: D3F30028 1CA20934
	v_mfma_f32_16x16x32_fp8_fp8 v[40:43], a[54:55], a[6:7], v[40:43]// 0000000034D4: D3F30028 1CA20D36
	v_mfma_f32_16x16x32_fp8_fp8 v[44:47], a[56:57], a[0:1], v[44:47]// 0000000034DC: D3F3002C 1CB20138
	v_mfma_f32_16x16x32_fp8_fp8 v[44:47], a[58:59], a[2:3], v[44:47]// 0000000034E4: D3F3002C 1CB2053A
	buffer_load_dwordx4 a[20:23], v36, s[24:27], 0 offen offset:1024// 0000000034EC: E05C1400 80861424
	v_mfma_f32_16x16x32_fp8_fp8 v[44:47], a[60:61], a[4:5], v[44:47]// 0000000034F4: D3F3002C 1CB2093C
	v_mfma_f32_16x16x32_fp8_fp8 v[44:47], a[62:63], a[6:7], v[44:47]// 0000000034FC: D3F3002C 1CB20D3E
	v_mfma_f32_16x16x32_fp8_fp8 v[48:51], a[64:65], a[0:1], v[48:51]// 000000003504: D3F30030 1CC20140
	v_mfma_f32_16x16x32_fp8_fp8 v[48:51], a[66:67], a[2:3], v[48:51]// 00000000350C: D3F30030 1CC20542
	buffer_load_dwordx4 a[24:27], v37, s[24:27], 0 offen       // 000000003514: E05C1000 80861825
	v_mfma_f32_16x16x32_fp8_fp8 v[48:51], a[68:69], a[4:5], v[48:51]// 00000000351C: D3F30030 1CC20944
	v_mfma_f32_16x16x32_fp8_fp8 v[48:51], a[70:71], a[6:7], v[48:51]// 000000003524: D3F30030 1CC20D46
	v_mfma_f32_16x16x32_fp8_fp8 v[52:55], a[72:73], a[0:1], v[52:55]// 00000000352C: D3F30034 1CD20148
	v_mfma_f32_16x16x32_fp8_fp8 v[52:55], a[74:75], a[2:3], v[52:55]// 000000003534: D3F30034 1CD2054A
	buffer_load_dwordx4 a[28:31], v37, s[24:27], 0 offen offset:1024// 00000000353C: E05C1400 80861C25
	v_mfma_f32_16x16x32_fp8_fp8 v[52:55], a[76:77], a[4:5], v[52:55]// 000000003544: D3F30034 1CD2094C
	v_mfma_f32_16x16x32_fp8_fp8 v[52:55], a[78:79], a[6:7], v[52:55]// 00000000354C: D3F30034 1CD20D4E
	buffer_load_dwordx4 a[32:35], v38, s[24:27], 0 offen       // 000000003554: E05C1000 80862026
	buffer_load_dwordx4 a[36:39], v38, s[24:27], 0 offen offset:1024// 00000000355C: E05C1400 80862426
	buffer_load_dwordx4 a[40:43], v39, s[24:27], 0 offen       // 000000003564: E05C1000 80862827
	buffer_load_dwordx4 a[44:47], v39, s[24:27], 0 offen offset:1024// 00000000356C: E05C1400 80862C27
	buffer_load_dword v34, s[20:23], 0 offen lds               // 000000003574: E0511000 80050022
	s_add_u32 m0, 0x100, s49                                   // 00000000357C: 807C31FF 00000100
	buffer_load_dword v35, s[20:23], 0 offen lds               // 000000003584: E0511000 80050023
	s_add_u32 m0, 0, s50                                       // 00000000358C: 807C3280
	s_waitcnt vmcnt(10)                                        // 000000003590: BF8C0F7A
	s_barrier                                                  // 000000003594: BF8A0000
	v_mfma_f32_16x16x32_fp8_fp8 v[56:59], a[80:81], a[0:1], v[56:59]// 000000003598: D3F30038 1CE20150
	v_mfma_f32_16x16x32_fp8_fp8 v[56:59], a[82:83], a[2:3], v[56:59]// 0000000035A0: D3F30038 1CE20552
	buffer_load_dwordx4 a[48:51], v36, s[84:87], 0 offen       // 0000000035A8: E05C1000 80953024
	v_mfma_f32_16x16x32_fp8_fp8 v[56:59], a[84:85], a[4:5], v[56:59]// 0000000035B0: D3F30038 1CE20954
	v_mfma_f32_16x16x32_fp8_fp8 v[56:59], a[86:87], a[6:7], v[56:59]// 0000000035B8: D3F30038 1CE20D56
	ds_read_b128 a[8:11], v2                                   // 0000000035C0: DBFE0000 08000002
	ds_read_b128 a[12:15], v2 offset:64                        // 0000000035C8: DBFE0040 0C000002
	v_mfma_f32_16x16x32_fp8_fp8 v[60:63], a[88:89], a[0:1], v[60:63]// 0000000035D0: D3F3003C 1CF20158
	v_mfma_f32_16x16x32_fp8_fp8 v[60:63], a[90:91], a[2:3], v[60:63]// 0000000035D8: D3F3003C 1CF2055A
	buffer_load_dwordx4 a[52:55], v36, s[84:87], 0 offen offset:1024// 0000000035E0: E05C1400 80953424
	v_mfma_f32_16x16x32_fp8_fp8 v[60:63], a[92:93], a[4:5], v[60:63]// 0000000035E8: D3F3003C 1CF2095C
	v_mfma_f32_16x16x32_fp8_fp8 v[60:63], a[94:95], a[6:7], v[60:63]// 0000000035F0: D3F3003C 1CF20D5E
	v_mfma_f32_16x16x32_fp8_fp8 v[64:67], a[96:97], a[0:1], v[64:67]// 0000000035F8: D3F30040 1D020160
	s_add_u32 s60, 0x180, s80                                  // 000000003600: 803C50FF 00000180
	s_cmp_lt_u32 s60, s81                                      // 000000003608: BF0A513C
	s_cselect_b32 s57, s57, 0                                  // 00000000360C: 85398039
	v_mfma_f32_16x16x32_fp8_fp8 v[64:67], a[98:99], a[2:3], v[64:67]// 000000003610: D3F30040 1D020562
	buffer_load_dwordx4 a[56:59], v37, s[84:87], 0 offen       // 000000003618: E05C1000 80953825
	s_add_u32 s60, 0x100, s80                                  // 000000003620: 803C50FF 00000100
	s_cmp_lt_u32 s60, s81                                      // 000000003628: BF0A513C
	s_cselect_b32 s58, s58, 0                                  // 00000000362C: 853A803A
	v_mfma_f32_16x16x32_fp8_fp8 v[64:67], a[100:101], a[4:5], v[64:67]// 000000003630: D3F30040 1D020964
	s_add_u32 s60, 0x100, s80                                  // 000000003638: 803C50FF 00000100
	s_cmp_lt_u32 s60, s81                                      // 000000003640: BF0A513C
	s_cselect_b32 s83, s83, 0                                  // 000000003644: 85538053
	v_mfma_f32_16x16x32_fp8_fp8 v[64:67], a[102:103], a[6:7], v[64:67]// 000000003648: D3F30040 1D020D66
	s_add_u32 s24, s58, s24                                    // 000000003650: 8018183A
	s_addc_u32 s25, 0, s25                                     // 000000003654: 82191980
	v_mfma_f32_16x16x32_fp8_fp8 v[68:71], a[104:105], a[0:1], v[68:71]// 000000003658: D3F30044 1D120168
	s_add_u32 s20, s57, s20                                    // 000000003660: 80141439
	s_addc_u32 s21, 0, s21                                     // 000000003664: 82151580
	v_mfma_f32_16x16x32_fp8_fp8 v[68:71], a[106:107], a[2:3], v[68:71]// 000000003668: D3F30044 1D12056A
	buffer_load_dwordx4 a[60:63], v37, s[84:87], 0 offen offset:1024// 000000003670: E05C1400 80953C25
	v_mfma_f32_16x16x32_fp8_fp8 v[68:71], a[108:109], a[4:5], v[68:71]// 000000003678: D3F30044 1D12096C
	v_mfma_f32_16x16x32_fp8_fp8 v[68:71], a[110:111], a[6:7], v[68:71]// 000000003680: D3F30044 1D120D6E
	buffer_load_dwordx4 a[64:67], v38, s[84:87], 0 offen       // 000000003688: E05C1000 80954026
	buffer_load_dwordx4 a[68:71], v38, s[84:87], 0 offen offset:1024// 000000003690: E05C1400 80954426
	buffer_load_dwordx4 a[72:75], v39, s[84:87], 0 offen       // 000000003698: E05C1000 80954827
	buffer_load_dwordx4 a[76:79], v39, s[84:87], 0 offen offset:1024// 0000000036A0: E05C1400 80954C27
	s_add_u32 s84, s83, s84                                    // 0000000036A8: 80545453
	s_addc_u32 s85, 0, s85                                     // 0000000036AC: 82555580
	s_addk_i32 s80, 0x80                                       // 0000000036B0: B7500080
	s_cmp_lt_i32 s80, s81                                      // 0000000036B4: BF045150
	s_cbranch_scc0 label_04B9                                  // 0000000036B8: BF84018A
	s_waitcnt vmcnt(10) lgkmcnt(0)                             // 0000000036BC: BF8C007A
	v_mfma_f32_16x16x32_fp8_fp8 v[40:43], a[16:17], a[8:9], v[40:43]// 0000000036C0: D3F30028 1CA21110
	v_mfma_f32_16x16x32_fp8_fp8 v[40:43], a[18:19], a[10:11], v[40:43]// 0000000036C8: D3F30028 1CA21512
	buffer_load_dwordx4 a[80:83], v36, s[24:27], 0 offen       // 0000000036D0: E05C1000 80865024
	v_mfma_f32_16x16x32_fp8_fp8 v[40:43], a[20:21], a[12:13], v[40:43]// 0000000036D8: D3F30028 1CA21914
	v_mfma_f32_16x16x32_fp8_fp8 v[40:43], a[22:23], a[14:15], v[40:43]// 0000000036E0: D3F30028 1CA21D16
	v_mfma_f32_16x16x32_fp8_fp8 v[44:47], a[24:25], a[8:9], v[44:47]// 0000000036E8: D3F3002C 1CB21118
	v_mfma_f32_16x16x32_fp8_fp8 v[44:47], a[26:27], a[10:11], v[44:47]// 0000000036F0: D3F3002C 1CB2151A
	buffer_load_dwordx4 a[84:87], v36, s[24:27], 0 offen offset:1024// 0000000036F8: E05C1400 80865424
	v_mfma_f32_16x16x32_fp8_fp8 v[44:47], a[28:29], a[12:13], v[44:47]// 000000003700: D3F3002C 1CB2191C
	v_mfma_f32_16x16x32_fp8_fp8 v[44:47], a[30:31], a[14:15], v[44:47]// 000000003708: D3F3002C 1CB21D1E
	v_mfma_f32_16x16x32_fp8_fp8 v[48:51], a[32:33], a[8:9], v[48:51]// 000000003710: D3F30030 1CC21120
	v_mfma_f32_16x16x32_fp8_fp8 v[48:51], a[34:35], a[10:11], v[48:51]// 000000003718: D3F30030 1CC21522
	buffer_load_dwordx4 a[88:91], v37, s[24:27], 0 offen       // 000000003720: E05C1000 80865825
	v_mfma_f32_16x16x32_fp8_fp8 v[48:51], a[36:37], a[12:13], v[48:51]// 000000003728: D3F30030 1CC21924
	v_mfma_f32_16x16x32_fp8_fp8 v[48:51], a[38:39], a[14:15], v[48:51]// 000000003730: D3F30030 1CC21D26
	v_mfma_f32_16x16x32_fp8_fp8 v[52:55], a[40:41], a[8:9], v[52:55]// 000000003738: D3F30034 1CD21128
	v_mfma_f32_16x16x32_fp8_fp8 v[52:55], a[42:43], a[10:11], v[52:55]// 000000003740: D3F30034 1CD2152A
	buffer_load_dwordx4 a[92:95], v37, s[24:27], 0 offen offset:1024// 000000003748: E05C1400 80865C25
	v_mfma_f32_16x16x32_fp8_fp8 v[52:55], a[44:45], a[12:13], v[52:55]// 000000003750: D3F30034 1CD2192C
	v_mfma_f32_16x16x32_fp8_fp8 v[52:55], a[46:47], a[14:15], v[52:55]// 000000003758: D3F30034 1CD21D2E
	buffer_load_dwordx4 a[96:99], v38, s[24:27], 0 offen       // 000000003760: E05C1000 80866026
	buffer_load_dwordx4 a[100:103], v38, s[24:27], 0 offen offset:1024// 000000003768: E05C1400 80866426
	buffer_load_dwordx4 a[104:107], v39, s[24:27], 0 offen     // 000000003770: E05C1000 80866827
	buffer_load_dwordx4 a[108:111], v39, s[24:27], 0 offen offset:1024// 000000003778: E05C1400 80866C27
	buffer_load_dword v34, s[20:23], 0 offen lds               // 000000003780: E0511000 80050022
	s_add_u32 m0, 0x100, s50                                   // 000000003788: 807C32FF 00000100
	buffer_load_dword v35, s[20:23], 0 offen lds               // 000000003790: E0511000 80050023
	s_add_u32 m0, 0, s48                                       // 000000003798: 807C3080
	s_waitcnt vmcnt(10)                                        // 00000000379C: BF8C0F7A
	s_barrier                                                  // 0000000037A0: BF8A0000
	v_mfma_f32_16x16x32_fp8_fp8 v[56:59], a[48:49], a[8:9], v[56:59]// 0000000037A4: D3F30038 1CE21130
	v_mfma_f32_16x16x32_fp8_fp8 v[56:59], a[50:51], a[10:11], v[56:59]// 0000000037AC: D3F30038 1CE21532
	buffer_load_dwordx4 a[16:19], v36, s[84:87], 0 offen       // 0000000037B4: E05C1000 80951024
	v_mfma_f32_16x16x32_fp8_fp8 v[56:59], a[52:53], a[12:13], v[56:59]// 0000000037BC: D3F30038 1CE21934
	v_mfma_f32_16x16x32_fp8_fp8 v[56:59], a[54:55], a[14:15], v[56:59]// 0000000037C4: D3F30038 1CE21D36
	ds_read_b128 a[0:3], v2 offset:2176                        // 0000000037CC: DBFE0880 00000002
	ds_read_b128 a[4:7], v2 offset:2240                        // 0000000037D4: DBFE08C0 04000002
	v_mfma_f32_16x16x32_fp8_fp8 v[60:63], a[56:57], a[8:9], v[60:63]// 0000000037DC: D3F3003C 1CF21138
	v_mfma_f32_16x16x32_fp8_fp8 v[60:63], a[58:59], a[10:11], v[60:63]// 0000000037E4: D3F3003C 1CF2153A
	buffer_load_dwordx4 a[20:23], v36, s[84:87], 0 offen offset:1024// 0000000037EC: E05C1400 80951424
	v_mfma_f32_16x16x32_fp8_fp8 v[60:63], a[60:61], a[12:13], v[60:63]// 0000000037F4: D3F3003C 1CF2193C
	v_mfma_f32_16x16x32_fp8_fp8 v[60:63], a[62:63], a[14:15], v[60:63]// 0000000037FC: D3F3003C 1CF21D3E
	v_mfma_f32_16x16x32_fp8_fp8 v[64:67], a[64:65], a[8:9], v[64:67]// 000000003804: D3F30040 1D021140
	s_add_u32 s60, 0x180, s80                                  // 00000000380C: 803C50FF 00000180
	s_cmp_lt_u32 s60, s81                                      // 000000003814: BF0A513C
	s_cselect_b32 s57, s57, 0                                  // 000000003818: 85398039
	v_mfma_f32_16x16x32_fp8_fp8 v[64:67], a[66:67], a[10:11], v[64:67]// 00000000381C: D3F30040 1D021542
	buffer_load_dwordx4 a[24:27], v37, s[84:87], 0 offen       // 000000003824: E05C1000 80951825
	s_add_u32 s60, 0x100, s80                                  // 00000000382C: 803C50FF 00000100
	s_cmp_lt_u32 s60, s81                                      // 000000003834: BF0A513C
	s_cselect_b32 s58, s58, 0                                  // 000000003838: 853A803A
	v_mfma_f32_16x16x32_fp8_fp8 v[64:67], a[68:69], a[12:13], v[64:67]// 00000000383C: D3F30040 1D021944
	s_add_u32 s60, 0x100, s80                                  // 000000003844: 803C50FF 00000100
	s_cmp_lt_u32 s60, s81                                      // 00000000384C: BF0A513C
	s_cselect_b32 s83, s83, 0                                  // 000000003850: 85538053
	v_mfma_f32_16x16x32_fp8_fp8 v[64:67], a[70:71], a[14:15], v[64:67]// 000000003854: D3F30040 1D021D46
	s_add_u32 s24, s58, s24                                    // 00000000385C: 8018183A
	s_addc_u32 s25, 0, s25                                     // 000000003860: 82191980
	v_mfma_f32_16x16x32_fp8_fp8 v[68:71], a[72:73], a[8:9], v[68:71]// 000000003864: D3F30044 1D121148
	s_add_u32 s20, s57, s20                                    // 00000000386C: 80141439
	s_addc_u32 s21, 0, s21                                     // 000000003870: 82151580
	v_mfma_f32_16x16x32_fp8_fp8 v[68:71], a[74:75], a[10:11], v[68:71]// 000000003874: D3F30044 1D12154A
	buffer_load_dwordx4 a[28:31], v37, s[84:87], 0 offen offset:1024// 00000000387C: E05C1400 80951C25
	v_mfma_f32_16x16x32_fp8_fp8 v[68:71], a[76:77], a[12:13], v[68:71]// 000000003884: D3F30044 1D12194C
	v_mfma_f32_16x16x32_fp8_fp8 v[68:71], a[78:79], a[14:15], v[68:71]// 00000000388C: D3F30044 1D121D4E
	buffer_load_dwordx4 a[32:35], v38, s[84:87], 0 offen       // 000000003894: E05C1000 80952026
	buffer_load_dwordx4 a[36:39], v38, s[84:87], 0 offen offset:1024// 00000000389C: E05C1400 80952426
	buffer_load_dwordx4 a[40:43], v39, s[84:87], 0 offen       // 0000000038A4: E05C1000 80952827
	buffer_load_dwordx4 a[44:47], v39, s[84:87], 0 offen offset:1024// 0000000038AC: E05C1400 80952C27
	s_add_u32 s84, s83, s84                                    // 0000000038B4: 80545453
	s_addc_u32 s85, 0, s85                                     // 0000000038B8: 82555580
	s_addk_i32 s80, 0x80                                       // 0000000038BC: B7500080
	s_cmp_lt_i32 s80, s81                                      // 0000000038C0: BF045150
	s_cbranch_scc0 label_04B9                                  // 0000000038C4: BF840107
	s_waitcnt vmcnt(10) lgkmcnt(0)                             // 0000000038C8: BF8C007A
	v_mfma_f32_16x16x32_fp8_fp8 v[40:43], a[80:81], a[0:1], v[40:43]// 0000000038CC: D3F30028 1CA20150
	v_mfma_f32_16x16x32_fp8_fp8 v[40:43], a[82:83], a[2:3], v[40:43]// 0000000038D4: D3F30028 1CA20552
	buffer_load_dwordx4 a[48:51], v36, s[24:27], 0 offen       // 0000000038DC: E05C1000 80863024
	v_mfma_f32_16x16x32_fp8_fp8 v[40:43], a[84:85], a[4:5], v[40:43]// 0000000038E4: D3F30028 1CA20954
	v_mfma_f32_16x16x32_fp8_fp8 v[40:43], a[86:87], a[6:7], v[40:43]// 0000000038EC: D3F30028 1CA20D56
	v_mfma_f32_16x16x32_fp8_fp8 v[44:47], a[88:89], a[0:1], v[44:47]// 0000000038F4: D3F3002C 1CB20158
	v_mfma_f32_16x16x32_fp8_fp8 v[44:47], a[90:91], a[2:3], v[44:47]// 0000000038FC: D3F3002C 1CB2055A
	buffer_load_dwordx4 a[52:55], v36, s[24:27], 0 offen offset:1024// 000000003904: E05C1400 80863424
	v_mfma_f32_16x16x32_fp8_fp8 v[44:47], a[92:93], a[4:5], v[44:47]// 00000000390C: D3F3002C 1CB2095C
	v_mfma_f32_16x16x32_fp8_fp8 v[44:47], a[94:95], a[6:7], v[44:47]// 000000003914: D3F3002C 1CB20D5E
	v_mfma_f32_16x16x32_fp8_fp8 v[48:51], a[96:97], a[0:1], v[48:51]// 00000000391C: D3F30030 1CC20160
	v_mfma_f32_16x16x32_fp8_fp8 v[48:51], a[98:99], a[2:3], v[48:51]// 000000003924: D3F30030 1CC20562
	buffer_load_dwordx4 a[56:59], v37, s[24:27], 0 offen       // 00000000392C: E05C1000 80863825
	v_mfma_f32_16x16x32_fp8_fp8 v[48:51], a[100:101], a[4:5], v[48:51]// 000000003934: D3F30030 1CC20964
	v_mfma_f32_16x16x32_fp8_fp8 v[48:51], a[102:103], a[6:7], v[48:51]// 00000000393C: D3F30030 1CC20D66
	v_mfma_f32_16x16x32_fp8_fp8 v[52:55], a[104:105], a[0:1], v[52:55]// 000000003944: D3F30034 1CD20168
	v_mfma_f32_16x16x32_fp8_fp8 v[52:55], a[106:107], a[2:3], v[52:55]// 00000000394C: D3F30034 1CD2056A
	buffer_load_dwordx4 a[60:63], v37, s[24:27], 0 offen offset:1024// 000000003954: E05C1400 80863C25
	v_mfma_f32_16x16x32_fp8_fp8 v[52:55], a[108:109], a[4:5], v[52:55]// 00000000395C: D3F30034 1CD2096C
	v_mfma_f32_16x16x32_fp8_fp8 v[52:55], a[110:111], a[6:7], v[52:55]// 000000003964: D3F30034 1CD20D6E
	buffer_load_dwordx4 a[64:67], v38, s[24:27], 0 offen       // 00000000396C: E05C1000 80864026
	buffer_load_dwordx4 a[68:71], v38, s[24:27], 0 offen offset:1024// 000000003974: E05C1400 80864426
	buffer_load_dwordx4 a[72:75], v39, s[24:27], 0 offen       // 00000000397C: E05C1000 80864827
	buffer_load_dwordx4 a[76:79], v39, s[24:27], 0 offen offset:1024// 000000003984: E05C1400 80864C27
	buffer_load_dword v34, s[20:23], 0 offen lds               // 00000000398C: E0511000 80050022
	s_add_u32 m0, 0x100, s48                                   // 000000003994: 807C30FF 00000100
	buffer_load_dword v35, s[20:23], 0 offen lds               // 00000000399C: E0511000 80050023
	s_add_u32 m0, 0, s49                                       // 0000000039A4: 807C3180
	s_waitcnt vmcnt(10)                                        // 0000000039A8: BF8C0F7A
	s_barrier                                                  // 0000000039AC: BF8A0000
	v_mfma_f32_16x16x32_fp8_fp8 v[56:59], a[16:17], a[0:1], v[56:59]// 0000000039B0: D3F30038 1CE20110
	v_mfma_f32_16x16x32_fp8_fp8 v[56:59], a[18:19], a[2:3], v[56:59]// 0000000039B8: D3F30038 1CE20512
	buffer_load_dwordx4 a[80:83], v36, s[84:87], 0 offen       // 0000000039C0: E05C1000 80955024
	v_mfma_f32_16x16x32_fp8_fp8 v[56:59], a[20:21], a[4:5], v[56:59]// 0000000039C8: D3F30038 1CE20914
	v_mfma_f32_16x16x32_fp8_fp8 v[56:59], a[22:23], a[6:7], v[56:59]// 0000000039D0: D3F30038 1CE20D16
	ds_read_b128 a[8:11], v2 offset:4352                       // 0000000039D8: DBFE1100 08000002
	ds_read_b128 a[12:15], v2 offset:4416                      // 0000000039E0: DBFE1140 0C000002
	v_mfma_f32_16x16x32_fp8_fp8 v[60:63], a[24:25], a[0:1], v[60:63]// 0000000039E8: D3F3003C 1CF20118
	v_mfma_f32_16x16x32_fp8_fp8 v[60:63], a[26:27], a[2:3], v[60:63]// 0000000039F0: D3F3003C 1CF2051A
	buffer_load_dwordx4 a[84:87], v36, s[84:87], 0 offen offset:1024// 0000000039F8: E05C1400 80955424
	v_mfma_f32_16x16x32_fp8_fp8 v[60:63], a[28:29], a[4:5], v[60:63]// 000000003A00: D3F3003C 1CF2091C
	v_mfma_f32_16x16x32_fp8_fp8 v[60:63], a[30:31], a[6:7], v[60:63]// 000000003A08: D3F3003C 1CF20D1E
	v_mfma_f32_16x16x32_fp8_fp8 v[64:67], a[32:33], a[0:1], v[64:67]// 000000003A10: D3F30040 1D020120
	s_add_u32 s60, 0x180, s80                                  // 000000003A18: 803C50FF 00000180
	s_cmp_lt_u32 s60, s81                                      // 000000003A20: BF0A513C
	s_cselect_b32 s57, s57, 0                                  // 000000003A24: 85398039
	v_mfma_f32_16x16x32_fp8_fp8 v[64:67], a[34:35], a[2:3], v[64:67]// 000000003A28: D3F30040 1D020522
	buffer_load_dwordx4 a[88:91], v37, s[84:87], 0 offen       // 000000003A30: E05C1000 80955825
	s_add_u32 s60, 0x100, s80                                  // 000000003A38: 803C50FF 00000100
	s_cmp_lt_u32 s60, s81                                      // 000000003A40: BF0A513C
	s_cselect_b32 s58, s58, 0                                  // 000000003A44: 853A803A
	v_mfma_f32_16x16x32_fp8_fp8 v[64:67], a[36:37], a[4:5], v[64:67]// 000000003A48: D3F30040 1D020924
	s_add_u32 s60, 0x100, s80                                  // 000000003A50: 803C50FF 00000100
	s_cmp_lt_u32 s60, s81                                      // 000000003A58: BF0A513C
	s_cselect_b32 s83, s83, 0                                  // 000000003A5C: 85538053
	v_mfma_f32_16x16x32_fp8_fp8 v[64:67], a[38:39], a[6:7], v[64:67]// 000000003A60: D3F30040 1D020D26
	s_add_u32 s24, s58, s24                                    // 000000003A68: 8018183A
	s_addc_u32 s25, 0, s25                                     // 000000003A6C: 82191980
	v_mfma_f32_16x16x32_fp8_fp8 v[68:71], a[40:41], a[0:1], v[68:71]// 000000003A70: D3F30044 1D120128
	s_add_u32 s20, s57, s20                                    // 000000003A78: 80141439
	s_addc_u32 s21, 0, s21                                     // 000000003A7C: 82151580
	v_mfma_f32_16x16x32_fp8_fp8 v[68:71], a[42:43], a[2:3], v[68:71]// 000000003A80: D3F30044 1D12052A
	buffer_load_dwordx4 a[92:95], v37, s[84:87], 0 offen offset:1024// 000000003A88: E05C1400 80955C25
	v_mfma_f32_16x16x32_fp8_fp8 v[68:71], a[44:45], a[4:5], v[68:71]// 000000003A90: D3F30044 1D12092C
	v_mfma_f32_16x16x32_fp8_fp8 v[68:71], a[46:47], a[6:7], v[68:71]// 000000003A98: D3F30044 1D120D2E
	buffer_load_dwordx4 a[96:99], v38, s[84:87], 0 offen       // 000000003AA0: E05C1000 80956026
	buffer_load_dwordx4 a[100:103], v38, s[84:87], 0 offen offset:1024// 000000003AA8: E05C1400 80956426
	buffer_load_dwordx4 a[104:107], v39, s[84:87], 0 offen     // 000000003AB0: E05C1000 80956827
	buffer_load_dwordx4 a[108:111], v39, s[84:87], 0 offen offset:1024// 000000003AB8: E05C1400 80956C27
	s_add_u32 s84, s83, s84                                    // 000000003AC0: 80545453
	s_addc_u32 s85, 0, s85                                     // 000000003AC4: 82555580
	s_addk_i32 s80, 0x80                                       // 000000003AC8: B7500080
	s_cmp_lt_i32 s80, s81                                      // 000000003ACC: BF045150
	s_cbranch_scc0 label_04B9                                  // 000000003AD0: BF840084
	s_waitcnt vmcnt(10) lgkmcnt(0)                             // 000000003AD4: BF8C007A
	v_mfma_f32_16x16x32_fp8_fp8 v[40:43], a[48:49], a[8:9], v[40:43]// 000000003AD8: D3F30028 1CA21130
	v_mfma_f32_16x16x32_fp8_fp8 v[40:43], a[50:51], a[10:11], v[40:43]// 000000003AE0: D3F30028 1CA21532
	buffer_load_dwordx4 a[16:19], v36, s[24:27], 0 offen       // 000000003AE8: E05C1000 80861024
	v_mfma_f32_16x16x32_fp8_fp8 v[40:43], a[52:53], a[12:13], v[40:43]// 000000003AF0: D3F30028 1CA21934
	v_mfma_f32_16x16x32_fp8_fp8 v[40:43], a[54:55], a[14:15], v[40:43]// 000000003AF8: D3F30028 1CA21D36
	v_mfma_f32_16x16x32_fp8_fp8 v[44:47], a[56:57], a[8:9], v[44:47]// 000000003B00: D3F3002C 1CB21138
	v_mfma_f32_16x16x32_fp8_fp8 v[44:47], a[58:59], a[10:11], v[44:47]// 000000003B08: D3F3002C 1CB2153A
	buffer_load_dwordx4 a[20:23], v36, s[24:27], 0 offen offset:1024// 000000003B10: E05C1400 80861424
	v_mfma_f32_16x16x32_fp8_fp8 v[44:47], a[60:61], a[12:13], v[44:47]// 000000003B18: D3F3002C 1CB2193C
	v_mfma_f32_16x16x32_fp8_fp8 v[44:47], a[62:63], a[14:15], v[44:47]// 000000003B20: D3F3002C 1CB21D3E
	v_mfma_f32_16x16x32_fp8_fp8 v[48:51], a[64:65], a[8:9], v[48:51]// 000000003B28: D3F30030 1CC21140
	v_mfma_f32_16x16x32_fp8_fp8 v[48:51], a[66:67], a[10:11], v[48:51]// 000000003B30: D3F30030 1CC21542
	buffer_load_dwordx4 a[24:27], v37, s[24:27], 0 offen       // 000000003B38: E05C1000 80861825
	v_mfma_f32_16x16x32_fp8_fp8 v[48:51], a[68:69], a[12:13], v[48:51]// 000000003B40: D3F30030 1CC21944
	v_mfma_f32_16x16x32_fp8_fp8 v[48:51], a[70:71], a[14:15], v[48:51]// 000000003B48: D3F30030 1CC21D46
	v_mfma_f32_16x16x32_fp8_fp8 v[52:55], a[72:73], a[8:9], v[52:55]// 000000003B50: D3F30034 1CD21148
	v_mfma_f32_16x16x32_fp8_fp8 v[52:55], a[74:75], a[10:11], v[52:55]// 000000003B58: D3F30034 1CD2154A
	buffer_load_dwordx4 a[28:31], v37, s[24:27], 0 offen offset:1024// 000000003B60: E05C1400 80861C25
	v_mfma_f32_16x16x32_fp8_fp8 v[52:55], a[76:77], a[12:13], v[52:55]// 000000003B68: D3F30034 1CD2194C
	v_mfma_f32_16x16x32_fp8_fp8 v[52:55], a[78:79], a[14:15], v[52:55]// 000000003B70: D3F30034 1CD21D4E
	buffer_load_dwordx4 a[32:35], v38, s[24:27], 0 offen       // 000000003B78: E05C1000 80862026
	buffer_load_dwordx4 a[36:39], v38, s[24:27], 0 offen offset:1024// 000000003B80: E05C1400 80862426
	buffer_load_dwordx4 a[40:43], v39, s[24:27], 0 offen       // 000000003B88: E05C1000 80862827
	buffer_load_dwordx4 a[44:47], v39, s[24:27], 0 offen offset:1024// 000000003B90: E05C1400 80862C27
	buffer_load_dword v34, s[20:23], 0 offen lds               // 000000003B98: E0511000 80050022
	s_add_u32 m0, 0x100, s49                                   // 000000003BA0: 807C31FF 00000100
	buffer_load_dword v35, s[20:23], 0 offen lds               // 000000003BA8: E0511000 80050023
	s_add_u32 m0, 0, s50                                       // 000000003BB0: 807C3280
	s_waitcnt vmcnt(10)                                        // 000000003BB4: BF8C0F7A
	s_barrier                                                  // 000000003BB8: BF8A0000
	v_mfma_f32_16x16x32_fp8_fp8 v[56:59], a[80:81], a[8:9], v[56:59]// 000000003BBC: D3F30038 1CE21150
	v_mfma_f32_16x16x32_fp8_fp8 v[56:59], a[82:83], a[10:11], v[56:59]// 000000003BC4: D3F30038 1CE21552
	buffer_load_dwordx4 a[48:51], v36, s[84:87], 0 offen       // 000000003BCC: E05C1000 80953024
	v_mfma_f32_16x16x32_fp8_fp8 v[56:59], a[84:85], a[12:13], v[56:59]// 000000003BD4: D3F30038 1CE21954
	v_mfma_f32_16x16x32_fp8_fp8 v[56:59], a[86:87], a[14:15], v[56:59]// 000000003BDC: D3F30038 1CE21D56
	ds_read_b128 a[0:3], v2                                    // 000000003BE4: DBFE0000 00000002
	ds_read_b128 a[4:7], v2 offset:64                          // 000000003BEC: DBFE0040 04000002
	v_mfma_f32_16x16x32_fp8_fp8 v[60:63], a[88:89], a[8:9], v[60:63]// 000000003BF4: D3F3003C 1CF21158
	v_mfma_f32_16x16x32_fp8_fp8 v[60:63], a[90:91], a[10:11], v[60:63]// 000000003BFC: D3F3003C 1CF2155A
	buffer_load_dwordx4 a[52:55], v36, s[84:87], 0 offen offset:1024// 000000003C04: E05C1400 80953424
	v_mfma_f32_16x16x32_fp8_fp8 v[60:63], a[92:93], a[12:13], v[60:63]// 000000003C0C: D3F3003C 1CF2195C
	v_mfma_f32_16x16x32_fp8_fp8 v[60:63], a[94:95], a[14:15], v[60:63]// 000000003C14: D3F3003C 1CF21D5E
	v_mfma_f32_16x16x32_fp8_fp8 v[64:67], a[96:97], a[8:9], v[64:67]// 000000003C1C: D3F30040 1D021160
	s_add_u32 s60, 0x180, s80                                  // 000000003C24: 803C50FF 00000180
	s_cmp_lt_u32 s60, s81                                      // 000000003C2C: BF0A513C
	s_cselect_b32 s57, s57, 0                                  // 000000003C30: 85398039
	v_mfma_f32_16x16x32_fp8_fp8 v[64:67], a[98:99], a[10:11], v[64:67]// 000000003C34: D3F30040 1D021562
	buffer_load_dwordx4 a[56:59], v37, s[84:87], 0 offen       // 000000003C3C: E05C1000 80953825
	s_add_u32 s60, 0x100, s80                                  // 000000003C44: 803C50FF 00000100
	s_cmp_lt_u32 s60, s81                                      // 000000003C4C: BF0A513C
	s_cselect_b32 s58, s58, 0                                  // 000000003C50: 853A803A
	v_mfma_f32_16x16x32_fp8_fp8 v[64:67], a[100:101], a[12:13], v[64:67]// 000000003C54: D3F30040 1D021964
	s_add_u32 s60, 0x100, s80                                  // 000000003C5C: 803C50FF 00000100
	s_cmp_lt_u32 s60, s81                                      // 000000003C64: BF0A513C
	s_cselect_b32 s83, s83, 0                                  // 000000003C68: 85538053
	v_mfma_f32_16x16x32_fp8_fp8 v[64:67], a[102:103], a[14:15], v[64:67]// 000000003C6C: D3F30040 1D021D66
	s_add_u32 s24, s58, s24                                    // 000000003C74: 8018183A
	s_addc_u32 s25, 0, s25                                     // 000000003C78: 82191980
	v_mfma_f32_16x16x32_fp8_fp8 v[68:71], a[104:105], a[8:9], v[68:71]// 000000003C7C: D3F30044 1D121168
	s_add_u32 s20, s57, s20                                    // 000000003C84: 80141439
	s_addc_u32 s21, 0, s21                                     // 000000003C88: 82151580
	v_mfma_f32_16x16x32_fp8_fp8 v[68:71], a[106:107], a[10:11], v[68:71]// 000000003C8C: D3F30044 1D12156A
	buffer_load_dwordx4 a[60:63], v37, s[84:87], 0 offen offset:1024// 000000003C94: E05C1400 80953C25
	v_mfma_f32_16x16x32_fp8_fp8 v[68:71], a[108:109], a[12:13], v[68:71]// 000000003C9C: D3F30044 1D12196C
	v_mfma_f32_16x16x32_fp8_fp8 v[68:71], a[110:111], a[14:15], v[68:71]// 000000003CA4: D3F30044 1D121D6E
	buffer_load_dwordx4 a[64:67], v38, s[84:87], 0 offen       // 000000003CAC: E05C1000 80954026
	buffer_load_dwordx4 a[68:71], v38, s[84:87], 0 offen offset:1024// 000000003CB4: E05C1400 80954426
	buffer_load_dwordx4 a[72:75], v39, s[84:87], 0 offen       // 000000003CBC: E05C1000 80954827
	buffer_load_dwordx4 a[76:79], v39, s[84:87], 0 offen offset:1024// 000000003CC4: E05C1400 80954C27
	s_add_u32 s84, s83, s84                                    // 000000003CCC: 80545453
	s_addc_u32 s85, 0, s85                                     // 000000003CD0: 82555580
	s_addk_i32 s80, 0x80                                       // 000000003CD4: B7500080
	s_cmp_lt_i32 s80, s81                                      // 000000003CD8: BF045150
	s_cbranch_scc0 label_04B9                                  // 000000003CDC: BF840001
	s_branch label_01A6                                        // 000000003CE0: BF82FCED

0000000000003ce4 <label_04B9>:
	v_mul_f32_dpp v40, v24, v40 row_newbcast:0 row_mask:0xf bank_mask:0xf// 000000003CE4: 0A5050FA FF015018
	v_mul_f32_dpp v41, v24, v41 row_newbcast:1 row_mask:0xf bank_mask:0xf// 000000003CEC: 0A5252FA FF015118
	v_mul_f32_dpp v42, v24, v42 row_newbcast:2 row_mask:0xf bank_mask:0xf// 000000003CF4: 0A5454FA FF015218
	v_mul_f32_dpp v43, v24, v43 row_newbcast:3 row_mask:0xf bank_mask:0xf// 000000003CFC: 0A5656FA FF015318
	v_mul_f32_dpp v44, v24, v44 row_newbcast:4 row_mask:0xf bank_mask:0xf// 000000003D04: 0A5858FA FF015418
	v_mul_f32_dpp v45, v24, v45 row_newbcast:5 row_mask:0xf bank_mask:0xf// 000000003D0C: 0A5A5AFA FF015518
	v_mul_f32_dpp v46, v24, v46 row_newbcast:6 row_mask:0xf bank_mask:0xf// 000000003D14: 0A5C5CFA FF015618
	v_mul_f32_dpp v47, v24, v47 row_newbcast:7 row_mask:0xf bank_mask:0xf// 000000003D1C: 0A5E5EFA FF015718
	v_mul_f32_dpp v48, v24, v48 row_newbcast:8 row_mask:0xf bank_mask:0xf// 000000003D24: 0A6060FA FF015818
	v_mul_f32_dpp v49, v24, v49 row_newbcast:9 row_mask:0xf bank_mask:0xf// 000000003D2C: 0A6262FA FF015918
	v_mul_f32_dpp v50, v24, v50 row_newbcast:10 row_mask:0xf bank_mask:0xf// 000000003D34: 0A6464FA FF015A18
	v_mul_f32_dpp v51, v24, v51 row_newbcast:11 row_mask:0xf bank_mask:0xf// 000000003D3C: 0A6666FA FF015B18
	v_mul_f32_dpp v52, v24, v52 row_newbcast:12 row_mask:0xf bank_mask:0xf// 000000003D44: 0A6868FA FF015C18
	v_mul_f32_dpp v53, v24, v53 row_newbcast:13 row_mask:0xf bank_mask:0xf// 000000003D4C: 0A6A6AFA FF015D18
	v_mul_f32_dpp v54, v24, v54 row_newbcast:14 row_mask:0xf bank_mask:0xf// 000000003D54: 0A6C6CFA FF015E18
	v_mul_f32_dpp v55, v24, v55 row_newbcast:15 row_mask:0xf bank_mask:0xf// 000000003D5C: 0A6E6EFA FF015F18
	v_mul_f32_dpp v56, v27, v56 row_newbcast:0 row_mask:0xf bank_mask:0xf// 000000003D64: 0A7070FA FF01501B
	v_mul_f32_dpp v57, v27, v57 row_newbcast:1 row_mask:0xf bank_mask:0xf// 000000003D6C: 0A7272FA FF01511B
	v_mul_f32_dpp v58, v27, v58 row_newbcast:2 row_mask:0xf bank_mask:0xf// 000000003D74: 0A7474FA FF01521B
	v_mul_f32_dpp v59, v27, v59 row_newbcast:3 row_mask:0xf bank_mask:0xf// 000000003D7C: 0A7676FA FF01531B
	v_mul_f32_dpp v60, v27, v60 row_newbcast:4 row_mask:0xf bank_mask:0xf// 000000003D84: 0A7878FA FF01541B
	v_mul_f32_dpp v61, v27, v61 row_newbcast:5 row_mask:0xf bank_mask:0xf// 000000003D8C: 0A7A7AFA FF01551B
	v_mul_f32_dpp v62, v27, v62 row_newbcast:6 row_mask:0xf bank_mask:0xf// 000000003D94: 0A7C7CFA FF01561B
	v_mul_f32_dpp v63, v27, v63 row_newbcast:7 row_mask:0xf bank_mask:0xf// 000000003D9C: 0A7E7EFA FF01571B
	v_mul_f32_dpp v64, v27, v64 row_newbcast:8 row_mask:0xf bank_mask:0xf// 000000003DA4: 0A8080FA FF01581B
	v_mul_f32_dpp v65, v27, v65 row_newbcast:9 row_mask:0xf bank_mask:0xf// 000000003DAC: 0A8282FA FF01591B
	v_mul_f32_dpp v66, v27, v66 row_newbcast:10 row_mask:0xf bank_mask:0xf// 000000003DB4: 0A8484FA FF015A1B
	v_mul_f32_dpp v67, v27, v67 row_newbcast:11 row_mask:0xf bank_mask:0xf// 000000003DBC: 0A8686FA FF015B1B
	v_mul_f32_dpp v68, v27, v68 row_newbcast:12 row_mask:0xf bank_mask:0xf// 000000003DC4: 0A8888FA FF015C1B
	v_mul_f32_dpp v69, v27, v69 row_newbcast:13 row_mask:0xf bank_mask:0xf// 000000003DCC: 0A8A8AFA FF015D1B
	v_mul_f32_dpp v70, v27, v70 row_newbcast:14 row_mask:0xf bank_mask:0xf// 000000003DD4: 0A8C8CFA FF015E1B
	v_mul_f32_dpp v71, v27, v71 row_newbcast:15 row_mask:0xf bank_mask:0xf// 000000003DDC: 0A8E8EFA FF015F1B
	v_mov_b32_e32 v4, v31                                      // 000000003DE4: 7E08031F
	v_mov_b32_e32 v5, v4                                       // 000000003DE8: 7E0A0304
	v_pk_mul_f32 v[40:41], v[4:5], v[40:41]                    // 000000003DEC: D3B14028 18025104
	v_pk_mul_f32 v[56:57], v[4:5], v[56:57]                    // 000000003DF4: D3B14038 18027104
	v_pk_mul_f32 v[42:43], v[4:5], v[42:43]                    // 000000003DFC: D3B1402A 18025504
	v_pk_mul_f32 v[58:59], v[4:5], v[58:59]                    // 000000003E04: D3B1403A 18027504
	v_pk_mul_f32 v[44:45], v[4:5], v[44:45]                    // 000000003E0C: D3B1402C 18025904
	v_pk_mul_f32 v[60:61], v[4:5], v[60:61]                    // 000000003E14: D3B1403C 18027904
	v_pk_mul_f32 v[46:47], v[4:5], v[46:47]                    // 000000003E1C: D3B1402E 18025D04
	v_pk_mul_f32 v[62:63], v[4:5], v[62:63]                    // 000000003E24: D3B1403E 18027D04
	v_pk_mul_f32 v[48:49], v[4:5], v[48:49]                    // 000000003E2C: D3B14030 18026104
	v_pk_mul_f32 v[64:65], v[4:5], v[64:65]                    // 000000003E34: D3B14040 18028104
	v_pk_mul_f32 v[50:51], v[4:5], v[50:51]                    // 000000003E3C: D3B14032 18026504
	v_pk_mul_f32 v[66:67], v[4:5], v[66:67]                    // 000000003E44: D3B14042 18028504
	v_pk_mul_f32 v[52:53], v[4:5], v[52:53]                    // 000000003E4C: D3B14034 18026904
	v_pk_mul_f32 v[68:69], v[4:5], v[68:69]                    // 000000003E54: D3B14044 18028904
	v_pk_mul_f32 v[54:55], v[4:5], v[54:55]                    // 000000003E5C: D3B14036 18026D04
	v_pk_mul_f32 v[70:71], v[4:5], v[70:71]                    // 000000003E64: D3B14046 18028D04
	s_cmp_eq_u32 s88, 0                                        // 000000003E6C: BF068058
	s_cbranch_scc0 label_0742                                  // 000000003E70: BF840225
	s_cmp_eq_u32 s89, 0                                        // 000000003E74: BF068059
	s_cbranch_scc1 label_05C4                                  // 000000003E78: BF8500A5
	v_mov_b32_e32 v8, v1                                       // 000000003E7C: 7E100301
	v_mov_b32_e32 v9, v1                                       // 000000003E80: 7E120301
	s_mov_b32 s60, s6                                          // 000000003E84: BEBC0006
	s_mov_b32 s61, s6                                          // 000000003E88: BEBD0006
	v_pk_mul_f32 v[4:5], v[40:41], v[40:41]                    // 000000003E8C: D3B14004 18025128
	v_pk_mul_f32 v[6:7], v[42:43], v[42:43]                    // 000000003E94: D3B14006 1802552A
	v_pk_fma_f32 v[4:5], v[4:5], s[78:79], v[8:9]              // 000000003E9C: D3B04004 1C209D04
	v_pk_fma_f32 v[6:7], v[6:7], s[78:79], v[8:9]              // 000000003EA4: D3B04006 1C209D06
	v_pk_mul_f32 v[4:5], v[4:5], v[40:41]                      // 000000003EAC: D3B14004 18025104
	v_pk_mul_f32 v[6:7], v[6:7], v[42:43]                      // 000000003EB4: D3B14006 18025506
	v_pk_mul_f32 v[4:5], v[4:5], s[60:61]                      // 000000003EBC: D3B14004 18007904
	v_pk_mul_f32 v[6:7], v[6:7], s[60:61]                      // 000000003EC4: D3B14006 18007906
	v_exp_f32_e32 v4, v4                                       // 000000003ECC: 7E084104
	v_exp_f32_e32 v5, v5                                       // 000000003ED0: 7E0A4105
	v_exp_f32_e32 v6, v6                                       // 000000003ED4: 7E0C4106
	v_exp_f32_e32 v7, v7                                       // 000000003ED8: 7E0E4107
	v_add_f32_e64 v4, v4, 1.0                                  // 000000003EDC: D1010004 0001E504
	v_add_f32_e64 v5, v5, 1.0                                  // 000000003EE4: D1010005 0001E505
	v_add_f32_e64 v6, v6, 1.0                                  // 000000003EEC: D1010006 0001E506
	v_add_f32_e64 v7, v7, 1.0                                  // 000000003EF4: D1010007 0001E507
	v_rcp_f32_e32 v4, v4                                       // 000000003EFC: 7E084504
	v_rcp_f32_e32 v5, v5                                       // 000000003F00: 7E0A4505
	v_rcp_f32_e32 v6, v6                                       // 000000003F04: 7E0C4506
	v_rcp_f32_e32 v7, v7                                       // 000000003F08: 7E0E4507
	v_mul_f32_e32 v40, v40, v4                                 // 000000003F0C: 0A500928
	v_mul_f32_e32 v41, v41, v5                                 // 000000003F10: 0A520B29
	v_mul_f32_e32 v42, v42, v6                                 // 000000003F14: 0A540D2A
	v_mul_f32_e32 v43, v43, v7                                 // 000000003F18: 0A560F2B
	v_mul_f32_e32 v40, v40, v56                                // 000000003F1C: 0A507128
	v_mul_f32_e32 v41, v41, v57                                // 000000003F20: 0A527329
	v_mul_f32_e32 v42, v42, v58                                // 000000003F24: 0A54752A
	v_mul_f32_e32 v43, v43, v59                                // 000000003F28: 0A56772B
	v_pk_mul_f32 v[4:5], v[44:45], v[44:45]                    // 000000003F2C: D3B14004 1802592C
	v_pk_mul_f32 v[6:7], v[46:47], v[46:47]                    // 000000003F34: D3B14006 18025D2E
	v_pk_fma_f32 v[4:5], v[4:5], s[78:79], v[8:9]              // 000000003F3C: D3B04004 1C209D04
	v_pk_fma_f32 v[6:7], v[6:7], s[78:79], v[8:9]              // 000000003F44: D3B04006 1C209D06
	v_pk_mul_f32 v[4:5], v[4:5], v[44:45]                      // 000000003F4C: D3B14004 18025904
	v_pk_mul_f32 v[6:7], v[6:7], v[46:47]                      // 000000003F54: D3B14006 18025D06
	v_pk_mul_f32 v[4:5], v[4:5], s[60:61]                      // 000000003F5C: D3B14004 18007904
	v_pk_mul_f32 v[6:7], v[6:7], s[60:61]                      // 000000003F64: D3B14006 18007906
	v_exp_f32_e32 v4, v4                                       // 000000003F6C: 7E084104
	v_exp_f32_e32 v5, v5                                       // 000000003F70: 7E0A4105
	v_exp_f32_e32 v6, v6                                       // 000000003F74: 7E0C4106
	v_exp_f32_e32 v7, v7                                       // 000000003F78: 7E0E4107
	v_add_f32_e64 v4, v4, 1.0                                  // 000000003F7C: D1010004 0001E504
	v_add_f32_e64 v5, v5, 1.0                                  // 000000003F84: D1010005 0001E505
	v_add_f32_e64 v6, v6, 1.0                                  // 000000003F8C: D1010006 0001E506
	v_add_f32_e64 v7, v7, 1.0                                  // 000000003F94: D1010007 0001E507
	v_rcp_f32_e32 v4, v4                                       // 000000003F9C: 7E084504
	v_rcp_f32_e32 v5, v5                                       // 000000003FA0: 7E0A4505
	v_rcp_f32_e32 v6, v6                                       // 000000003FA4: 7E0C4506
	v_rcp_f32_e32 v7, v7                                       // 000000003FA8: 7E0E4507
	v_mul_f32_e32 v44, v44, v4                                 // 000000003FAC: 0A58092C
	v_mul_f32_e32 v45, v45, v5                                 // 000000003FB0: 0A5A0B2D
	v_mul_f32_e32 v46, v46, v6                                 // 000000003FB4: 0A5C0D2E
	v_mul_f32_e32 v47, v47, v7                                 // 000000003FB8: 0A5E0F2F
	v_mul_f32_e32 v44, v44, v60                                // 000000003FBC: 0A58792C
	v_mul_f32_e32 v45, v45, v61                                // 000000003FC0: 0A5A7B2D
	v_mul_f32_e32 v46, v46, v62                                // 000000003FC4: 0A5C7D2E
	v_mul_f32_e32 v47, v47, v63                                // 000000003FC8: 0A5E7F2F
	v_pk_mul_f32 v[4:5], v[48:49], v[48:49]                    // 000000003FCC: D3B14004 18026130
	v_pk_mul_f32 v[6:7], v[50:51], v[50:51]                    // 000000003FD4: D3B14006 18026532
	v_pk_fma_f32 v[4:5], v[4:5], s[78:79], v[8:9]              // 000000003FDC: D3B04004 1C209D04
	v_pk_fma_f32 v[6:7], v[6:7], s[78:79], v[8:9]              // 000000003FE4: D3B04006 1C209D06
	v_pk_mul_f32 v[4:5], v[4:5], v[48:49]                      // 000000003FEC: D3B14004 18026104
	v_pk_mul_f32 v[6:7], v[6:7], v[50:51]                      // 000000003FF4: D3B14006 18026506
	v_pk_mul_f32 v[4:5], v[4:5], s[60:61]                      // 000000003FFC: D3B14004 18007904
	v_pk_mul_f32 v[6:7], v[6:7], s[60:61]                      // 000000004004: D3B14006 18007906
	v_exp_f32_e32 v4, v4                                       // 00000000400C: 7E084104
	v_exp_f32_e32 v5, v5                                       // 000000004010: 7E0A4105
	v_exp_f32_e32 v6, v6                                       // 000000004014: 7E0C4106
	v_exp_f32_e32 v7, v7                                       // 000000004018: 7E0E4107
	v_add_f32_e64 v4, v4, 1.0                                  // 00000000401C: D1010004 0001E504
	v_add_f32_e64 v5, v5, 1.0                                  // 000000004024: D1010005 0001E505
	v_add_f32_e64 v6, v6, 1.0                                  // 00000000402C: D1010006 0001E506
	v_add_f32_e64 v7, v7, 1.0                                  // 000000004034: D1010007 0001E507
	v_rcp_f32_e32 v4, v4                                       // 00000000403C: 7E084504
	v_rcp_f32_e32 v5, v5                                       // 000000004040: 7E0A4505
	v_rcp_f32_e32 v6, v6                                       // 000000004044: 7E0C4506
	v_rcp_f32_e32 v7, v7                                       // 000000004048: 7E0E4507
	v_mul_f32_e32 v48, v48, v4                                 // 00000000404C: 0A600930
	v_mul_f32_e32 v49, v49, v5                                 // 000000004050: 0A620B31
	v_mul_f32_e32 v50, v50, v6                                 // 000000004054: 0A640D32
	v_mul_f32_e32 v51, v51, v7                                 // 000000004058: 0A660F33
	v_mul_f32_e32 v48, v48, v64                                // 00000000405C: 0A608130
	v_mul_f32_e32 v49, v49, v65                                // 000000004060: 0A628331
	v_mul_f32_e32 v50, v50, v66                                // 000000004064: 0A648532
	v_mul_f32_e32 v51, v51, v67                                // 000000004068: 0A668733
	v_pk_mul_f32 v[4:5], v[52:53], v[52:53]                    // 00000000406C: D3B14004 18026934
	v_pk_mul_f32 v[6:7], v[54:55], v[54:55]                    // 000000004074: D3B14006 18026D36
	v_pk_fma_f32 v[4:5], v[4:5], s[78:79], v[8:9]              // 00000000407C: D3B04004 1C209D04
	v_pk_fma_f32 v[6:7], v[6:7], s[78:79], v[8:9]              // 000000004084: D3B04006 1C209D06
	v_pk_mul_f32 v[4:5], v[4:5], v[52:53]                      // 00000000408C: D3B14004 18026904
	v_pk_mul_f32 v[6:7], v[6:7], v[54:55]                      // 000000004094: D3B14006 18026D06
	v_pk_mul_f32 v[4:5], v[4:5], s[60:61]                      // 00000000409C: D3B14004 18007904
	v_pk_mul_f32 v[6:7], v[6:7], s[60:61]                      // 0000000040A4: D3B14006 18007906
	v_exp_f32_e32 v4, v4                                       // 0000000040AC: 7E084104
	v_exp_f32_e32 v5, v5                                       // 0000000040B0: 7E0A4105
	v_exp_f32_e32 v6, v6                                       // 0000000040B4: 7E0C4106
	v_exp_f32_e32 v7, v7                                       // 0000000040B8: 7E0E4107
	v_add_f32_e64 v4, v4, 1.0                                  // 0000000040BC: D1010004 0001E504
	v_add_f32_e64 v5, v5, 1.0                                  // 0000000040C4: D1010005 0001E505
	v_add_f32_e64 v6, v6, 1.0                                  // 0000000040CC: D1010006 0001E506
	v_add_f32_e64 v7, v7, 1.0                                  // 0000000040D4: D1010007 0001E507
	v_rcp_f32_e32 v4, v4                                       // 0000000040DC: 7E084504
	v_rcp_f32_e32 v5, v5                                       // 0000000040E0: 7E0A4505
	v_rcp_f32_e32 v6, v6                                       // 0000000040E4: 7E0C4506
	v_rcp_f32_e32 v7, v7                                       // 0000000040E8: 7E0E4507
	v_mul_f32_e32 v52, v52, v4                                 // 0000000040EC: 0A680934
	v_mul_f32_e32 v53, v53, v5                                 // 0000000040F0: 0A6A0B35
	v_mul_f32_e32 v54, v54, v6                                 // 0000000040F4: 0A6C0D36
	v_mul_f32_e32 v55, v55, v7                                 // 0000000040F8: 0A6E0F37
	v_mul_f32_e32 v52, v52, v68                                // 0000000040FC: 0A688934
	v_mul_f32_e32 v53, v53, v69                                // 000000004100: 0A6A8B35
	v_mul_f32_e32 v54, v54, v70                                // 000000004104: 0A6C8D36
	v_mul_f32_e32 v55, v55, v71                                // 000000004108: 0A6E8F37
	s_branch label_0644                                        // 00000000410C: BF820080

0000000000004110 <label_05C4>:
	v_mul_f32_e64 v4, -v40, s6                                 // 000000004110: D1050004 20000D28
	v_mul_f32_e64 v5, -v41, s6                                 // 000000004118: D1050005 20000D29
	v_mul_f32_e64 v6, -v42, s6                                 // 000000004120: D1050006 20000D2A
	v_mul_f32_e64 v7, -v43, s6                                 // 000000004128: D1050007 20000D2B
	v_exp_f32_e32 v4, v4                                       // 000000004130: 7E084104
	v_exp_f32_e32 v5, v5                                       // 000000004134: 7E0A4105
	v_exp_f32_e32 v6, v6                                       // 000000004138: 7E0C4106
	v_exp_f32_e32 v7, v7                                       // 00000000413C: 7E0E4107
	v_add_f32_e64 v4, v4, 1.0                                  // 000000004140: D1010004 0001E504
	v_add_f32_e64 v5, v5, 1.0                                  // 000000004148: D1010005 0001E505
	v_add_f32_e64 v6, v6, 1.0                                  // 000000004150: D1010006 0001E506
	v_add_f32_e64 v7, v7, 1.0                                  // 000000004158: D1010007 0001E507
	v_rcp_f32_e32 v4, v4                                       // 000000004160: 7E084504
	v_rcp_f32_e32 v5, v5                                       // 000000004164: 7E0A4505
	v_rcp_f32_e32 v6, v6                                       // 000000004168: 7E0C4506
	v_rcp_f32_e32 v7, v7                                       // 00000000416C: 7E0E4507
	v_mul_f32_e32 v40, v40, v4                                 // 000000004170: 0A500928
	v_mul_f32_e32 v41, v41, v5                                 // 000000004174: 0A520B29
	v_mul_f32_e32 v42, v42, v6                                 // 000000004178: 0A540D2A
	v_mul_f32_e32 v43, v43, v7                                 // 00000000417C: 0A560F2B
	v_mul_f32_e32 v40, v40, v56                                // 000000004180: 0A507128
	v_mul_f32_e32 v41, v41, v57                                // 000000004184: 0A527329
	v_mul_f32_e32 v42, v42, v58                                // 000000004188: 0A54752A
	v_mul_f32_e32 v43, v43, v59                                // 00000000418C: 0A56772B
	v_mul_f32_e64 v4, -v44, s6                                 // 000000004190: D1050004 20000D2C
	v_mul_f32_e64 v5, -v45, s6                                 // 000000004198: D1050005 20000D2D
	v_mul_f32_e64 v6, -v46, s6                                 // 0000000041A0: D1050006 20000D2E
	v_mul_f32_e64 v7, -v47, s6                                 // 0000000041A8: D1050007 20000D2F
	v_exp_f32_e32 v4, v4                                       // 0000000041B0: 7E084104
	v_exp_f32_e32 v5, v5                                       // 0000000041B4: 7E0A4105
	v_exp_f32_e32 v6, v6                                       // 0000000041B8: 7E0C4106
	v_exp_f32_e32 v7, v7                                       // 0000000041BC: 7E0E4107
	v_add_f32_e64 v4, v4, 1.0                                  // 0000000041C0: D1010004 0001E504
	v_add_f32_e64 v5, v5, 1.0                                  // 0000000041C8: D1010005 0001E505
	v_add_f32_e64 v6, v6, 1.0                                  // 0000000041D0: D1010006 0001E506
	v_add_f32_e64 v7, v7, 1.0                                  // 0000000041D8: D1010007 0001E507
	v_rcp_f32_e32 v4, v4                                       // 0000000041E0: 7E084504
	v_rcp_f32_e32 v5, v5                                       // 0000000041E4: 7E0A4505
	v_rcp_f32_e32 v6, v6                                       // 0000000041E8: 7E0C4506
	v_rcp_f32_e32 v7, v7                                       // 0000000041EC: 7E0E4507
	v_mul_f32_e32 v44, v44, v4                                 // 0000000041F0: 0A58092C
	v_mul_f32_e32 v45, v45, v5                                 // 0000000041F4: 0A5A0B2D
	v_mul_f32_e32 v46, v46, v6                                 // 0000000041F8: 0A5C0D2E
	v_mul_f32_e32 v47, v47, v7                                 // 0000000041FC: 0A5E0F2F
	v_mul_f32_e32 v44, v44, v60                                // 000000004200: 0A58792C
	v_mul_f32_e32 v45, v45, v61                                // 000000004204: 0A5A7B2D
	v_mul_f32_e32 v46, v46, v62                                // 000000004208: 0A5C7D2E
	v_mul_f32_e32 v47, v47, v63                                // 00000000420C: 0A5E7F2F
	v_mul_f32_e64 v4, -v48, s6                                 // 000000004210: D1050004 20000D30
	v_mul_f32_e64 v5, -v49, s6                                 // 000000004218: D1050005 20000D31
	v_mul_f32_e64 v6, -v50, s6                                 // 000000004220: D1050006 20000D32
	v_mul_f32_e64 v7, -v51, s6                                 // 000000004228: D1050007 20000D33
	v_exp_f32_e32 v4, v4                                       // 000000004230: 7E084104
	v_exp_f32_e32 v5, v5                                       // 000000004234: 7E0A4105
	v_exp_f32_e32 v6, v6                                       // 000000004238: 7E0C4106
	v_exp_f32_e32 v7, v7                                       // 00000000423C: 7E0E4107
	v_add_f32_e64 v4, v4, 1.0                                  // 000000004240: D1010004 0001E504
	v_add_f32_e64 v5, v5, 1.0                                  // 000000004248: D1010005 0001E505
	v_add_f32_e64 v6, v6, 1.0                                  // 000000004250: D1010006 0001E506
	v_add_f32_e64 v7, v7, 1.0                                  // 000000004258: D1010007 0001E507
	v_rcp_f32_e32 v4, v4                                       // 000000004260: 7E084504
	v_rcp_f32_e32 v5, v5                                       // 000000004264: 7E0A4505
	v_rcp_f32_e32 v6, v6                                       // 000000004268: 7E0C4506
	v_rcp_f32_e32 v7, v7                                       // 00000000426C: 7E0E4507
	v_mul_f32_e32 v48, v48, v4                                 // 000000004270: 0A600930
	v_mul_f32_e32 v49, v49, v5                                 // 000000004274: 0A620B31
	v_mul_f32_e32 v50, v50, v6                                 // 000000004278: 0A640D32
	v_mul_f32_e32 v51, v51, v7                                 // 00000000427C: 0A660F33
	v_mul_f32_e32 v48, v48, v64                                // 000000004280: 0A608130
	v_mul_f32_e32 v49, v49, v65                                // 000000004284: 0A628331
	v_mul_f32_e32 v50, v50, v66                                // 000000004288: 0A648532
	v_mul_f32_e32 v51, v51, v67                                // 00000000428C: 0A668733
	v_mul_f32_e64 v4, -v52, s6                                 // 000000004290: D1050004 20000D34
	v_mul_f32_e64 v5, -v53, s6                                 // 000000004298: D1050005 20000D35
	v_mul_f32_e64 v6, -v54, s6                                 // 0000000042A0: D1050006 20000D36
	v_mul_f32_e64 v7, -v55, s6                                 // 0000000042A8: D1050007 20000D37
	v_exp_f32_e32 v4, v4                                       // 0000000042B0: 7E084104
	v_exp_f32_e32 v5, v5                                       // 0000000042B4: 7E0A4105
	v_exp_f32_e32 v6, v6                                       // 0000000042B8: 7E0C4106
	v_exp_f32_e32 v7, v7                                       // 0000000042BC: 7E0E4107
	v_add_f32_e64 v4, v4, 1.0                                  // 0000000042C0: D1010004 0001E504
	v_add_f32_e64 v5, v5, 1.0                                  // 0000000042C8: D1010005 0001E505
	v_add_f32_e64 v6, v6, 1.0                                  // 0000000042D0: D1010006 0001E506
	v_add_f32_e64 v7, v7, 1.0                                  // 0000000042D8: D1010007 0001E507
	v_rcp_f32_e32 v4, v4                                       // 0000000042E0: 7E084504
	v_rcp_f32_e32 v5, v5                                       // 0000000042E4: 7E0A4505
	v_rcp_f32_e32 v6, v6                                       // 0000000042E8: 7E0C4506
	v_rcp_f32_e32 v7, v7                                       // 0000000042EC: 7E0E4507
	v_mul_f32_e32 v52, v52, v4                                 // 0000000042F0: 0A680934
	v_mul_f32_e32 v53, v53, v5                                 // 0000000042F4: 0A6A0B35
	v_mul_f32_e32 v54, v54, v6                                 // 0000000042F8: 0A6C0D36
	v_mul_f32_e32 v55, v55, v7                                 // 0000000042FC: 0A6E0F37
	v_mul_f32_e32 v52, v52, v68                                // 000000004300: 0A688934
	v_mul_f32_e32 v53, v53, v69                                // 000000004304: 0A6A8B35
	v_mul_f32_e32 v54, v54, v70                                // 000000004308: 0A6C8D36
	v_mul_f32_e32 v55, v55, v71                                // 00000000430C: 0A6E8F37

0000000000004310 <label_0644>:
	v_cmp_u_f32_e64 s[46:47], v40, v40                         // 000000004310: D048002E 00025128
	v_add3_u32 v16, v40, v19, 1                                // 000000004318: D1FF0010 02062728
	v_cndmask_b32_e64 v4, v16, v18, s[46:47]                   // 000000004320: D1000004 00BA2510
	v_cmp_u_f32_e64 s[46:47], v41, v41                         // 000000004328: D048002E 00025329
	v_add3_u32 v16, v41, v19, 1                                // 000000004330: D1FF0010 02062729
	v_cndmask_b32_e64 v5, v16, v18, s[46:47]                   // 000000004338: D1000005 00BA2510
	v_perm_b32 v40, v5, v4, s52                                // 000000004340: D1ED0028 00D20905
	v_cmp_u_f32_e64 s[46:47], v42, v42                         // 000000004348: D048002E 0002552A
	v_add3_u32 v16, v42, v19, 1                                // 000000004350: D1FF0010 0206272A
	v_cndmask_b32_e64 v4, v16, v18, s[46:47]                   // 000000004358: D1000004 00BA2510
	v_cmp_u_f32_e64 s[46:47], v43, v43                         // 000000004360: D048002E 0002572B
	v_add3_u32 v16, v43, v19, 1                                // 000000004368: D1FF0010 0206272B
	v_cndmask_b32_e64 v5, v16, v18, s[46:47]                   // 000000004370: D1000005 00BA2510
	v_perm_b32 v41, v5, v4, s52                                // 000000004378: D1ED0029 00D20905
	v_cmp_u_f32_e64 s[46:47], v44, v44                         // 000000004380: D048002E 0002592C
	v_add3_u32 v16, v44, v19, 1                                // 000000004388: D1FF0010 0206272C
	v_cndmask_b32_e64 v4, v16, v18, s[46:47]                   // 000000004390: D1000004 00BA2510
	v_cmp_u_f32_e64 s[46:47], v45, v45                         // 000000004398: D048002E 00025B2D
	v_add3_u32 v16, v45, v19, 1                                // 0000000043A0: D1FF0010 0206272D
	v_cndmask_b32_e64 v5, v16, v18, s[46:47]                   // 0000000043A8: D1000005 00BA2510
	v_perm_b32 v42, v5, v4, s52                                // 0000000043B0: D1ED002A 00D20905
	v_cmp_u_f32_e64 s[46:47], v46, v46                         // 0000000043B8: D048002E 00025D2E
	v_add3_u32 v16, v46, v19, 1                                // 0000000043C0: D1FF0010 0206272E
	v_cndmask_b32_e64 v4, v16, v18, s[46:47]                   // 0000000043C8: D1000004 00BA2510
	v_cmp_u_f32_e64 s[46:47], v47, v47                         // 0000000043D0: D048002E 00025F2F
	v_add3_u32 v16, v47, v19, 1                                // 0000000043D8: D1FF0010 0206272F
	v_cndmask_b32_e64 v5, v16, v18, s[46:47]                   // 0000000043E0: D1000005 00BA2510
	v_perm_b32 v43, v5, v4, s52                                // 0000000043E8: D1ED002B 00D20905
	v_cmp_u_f32_e64 s[46:47], v48, v48                         // 0000000043F0: D048002E 00026130
	v_add3_u32 v16, v48, v19, 1                                // 0000000043F8: D1FF0010 02062730
	v_cndmask_b32_e64 v4, v16, v18, s[46:47]                   // 000000004400: D1000004 00BA2510
	v_cmp_u_f32_e64 s[46:47], v49, v49                         // 000000004408: D048002E 00026331
	v_add3_u32 v16, v49, v19, 1                                // 000000004410: D1FF0010 02062731
	v_cndmask_b32_e64 v5, v16, v18, s[46:47]                   // 000000004418: D1000005 00BA2510
	v_perm_b32 v44, v5, v4, s52                                // 000000004420: D1ED002C 00D20905
	v_cmp_u_f32_e64 s[46:47], v50, v50                         // 000000004428: D048002E 00026532
	v_add3_u32 v16, v50, v19, 1                                // 000000004430: D1FF0010 02062732
	v_cndmask_b32_e64 v4, v16, v18, s[46:47]                   // 000000004438: D1000004 00BA2510
	v_cmp_u_f32_e64 s[46:47], v51, v51                         // 000000004440: D048002E 00026733
	v_add3_u32 v16, v51, v19, 1                                // 000000004448: D1FF0010 02062733
	v_cndmask_b32_e64 v5, v16, v18, s[46:47]                   // 000000004450: D1000005 00BA2510
	v_perm_b32 v45, v5, v4, s52                                // 000000004458: D1ED002D 00D20905
	v_cmp_u_f32_e64 s[46:47], v52, v52                         // 000000004460: D048002E 00026934
	v_add3_u32 v16, v52, v19, 1                                // 000000004468: D1FF0010 02062734
	v_cndmask_b32_e64 v4, v16, v18, s[46:47]                   // 000000004470: D1000004 00BA2510
	v_cmp_u_f32_e64 s[46:47], v53, v53                         // 000000004478: D048002E 00026B35
	v_add3_u32 v16, v53, v19, 1                                // 000000004480: D1FF0010 02062735
	v_cndmask_b32_e64 v5, v16, v18, s[46:47]                   // 000000004488: D1000005 00BA2510
	v_perm_b32 v46, v5, v4, s52                                // 000000004490: D1ED002E 00D20905
	v_cmp_u_f32_e64 s[46:47], v54, v54                         // 000000004498: D048002E 00026D36
	v_add3_u32 v16, v54, v19, 1                                // 0000000044A0: D1FF0010 02062736
	v_cndmask_b32_e64 v4, v16, v18, s[46:47]                   // 0000000044A8: D1000004 00BA2510
	v_cmp_u_f32_e64 s[46:47], v55, v55                         // 0000000044B0: D048002E 00026F37
	v_add3_u32 v16, v55, v19, 1                                // 0000000044B8: D1FF0010 02062737
	v_cndmask_b32_e64 v5, v16, v18, s[46:47]                   // 0000000044C0: D1000005 00BA2510
	v_perm_b32 v47, v5, v4, s52                                // 0000000044C8: D1ED002F 00D20905
	ds_write_b64 v20, v[40:41]                                 // 0000000044D0: D89A0000 00002814
	ds_write_b64 v20, v[42:43] offset:2176                     // 0000000044D8: D89A0880 00002A14
	ds_write_b64 v20, v[44:45] offset:4352                     // 0000000044E0: D89A1100 00002C14
	ds_write_b64 v20, v[46:47] offset:6528                     // 0000000044E8: D89A1980 00002E14
	v_lshrrev_b32_e32 v4, 5, v0                                // 0000000044F0: 20080085
	v_xor_b32_e32 v5, 1, v4                                    // 0000000044F4: 2A0A0881
	s_mul_i32 s60, s65, 2                                      // 0000000044F8: 923C8241
	s_cmp_eq_u32 s88, 0                                        // 0000000044FC: BF068058
	s_cselect_b32 s61, 1, 4                                    // 000000004500: 853D8481
	s_mul_i32 s60, s61, s60                                    // 000000004504: 923C3C3D
	v_readlane_b32 s82, v3, 0                                  // 000000004508: D2890052 00010103
	s_lshr_b32 s61, s82, 24                                    // 000000004510: 8F3D9852
	s_and_b32 s82, s82, 0xffffff                               // 000000004514: 8652FF52 00FFFFFF
	s_mul_i32 s82, s82, s71                                    // 00000000451C: 92524752
	s_mul_i32 s61, s60, s61                                    // 000000004520: 923D3D3C
	s_add_u32 s82, s82, s61                                    // 000000004524: 80523D52
	v_mul_lo_u32 v6, v5, s82                                   // 000000004528: D2850006 0000A505
	v_readlane_b32 s82, v3, 1                                  // 000000004530: D2890052 00010303
	s_lshr_b32 s61, s82, 24                                    // 000000004538: 8F3D9852
	s_and_b32 s82, s82, 0xffffff                               // 00000000453C: 8652FF52 00FFFFFF
	s_mul_i32 s82, s82, s71                                    // 000000004544: 92524752
	s_mul_i32 s61, s60, s61                                    // 000000004548: 923D3D3C
	s_add_u32 s82, s82, s61                                    // 00000000454C: 80523D52
	v_mul_lo_u32 v7, v4, s82                                   // 000000004550: D2850007 0000A504
	v_add_u32_e32 v34, v6, v7                                  // 000000004558: 68440F06
	v_readlane_b32 s82, v3, 2                                  // 00000000455C: D2890052 00010503
	s_lshr_b32 s61, s82, 24                                    // 000000004564: 8F3D9852
	s_and_b32 s82, s82, 0xffffff                               // 000000004568: 8652FF52 00FFFFFF
	s_mul_i32 s82, s82, s71                                    // 000000004570: 92524752
	s_mul_i32 s61, s60, s61                                    // 000000004574: 923D3D3C
	s_add_u32 s82, s82, s61                                    // 000000004578: 80523D52
	v_mul_lo_u32 v6, v5, s82                                   // 00000000457C: D2850006 0000A505
	v_readlane_b32 s82, v3, 3                                  // 000000004584: D2890052 00010703
	s_lshr_b32 s61, s82, 24                                    // 00000000458C: 8F3D9852
	s_and_b32 s82, s82, 0xffffff                               // 000000004590: 8652FF52 00FFFFFF
	s_mul_i32 s82, s82, s71                                    // 000000004598: 92524752
	s_mul_i32 s61, s60, s61                                    // 00000000459C: 923D3D3C
	s_add_u32 s82, s82, s61                                    // 0000000045A0: 80523D52
	v_mul_lo_u32 v7, v4, s82                                   // 0000000045A4: D2850007 0000A504
	v_add_u32_e32 v35, v6, v7                                  // 0000000045AC: 68460F06
	v_and_b32_e32 v4, 31, v0                                   // 0000000045B0: 2608009F
	v_lshrrev_b32_e32 v4, 1, v4                                // 0000000045B4: 20080881
	s_cmp_eq_u32 s88, 0                                        // 0000000045B8: BF068058
	s_cselect_b32 s61, 2, 4                                    // 0000000045BC: 853D8482
	v_mul_lo_u32 v4, v4, s61                                   // 0000000045C0: D2850004 00007B04
	v_and_b32_e64 v5, v0, 1                                    // 0000000045C8: D1130005 00010300
	v_add_u32_e32 v4, v4, v5                                   // 0000000045D0: 68080B04
	v_lshlrev_b32_e32 v4, 2, v4                                // 0000000045D4: 24080882
	v_add_u32_e32 v34, v34, v4                                 // 0000000045D8: 68440922
	v_add_u32_e32 v35, v35, v4                                 // 0000000045DC: 68460923
	s_waitcnt lgkmcnt(0)                                       // 0000000045E0: BF8CC07F
	s_barrier                                                  // 0000000045E4: BF8A0000
	ds_read_b32 v40, v21                                       // 0000000045E8: D86C0000 28000015
	ds_read_b32 v41, v21 offset:64                             // 0000000045F0: D86C0040 29000015
	ds_read_b32 v42, v21 offset:2176                           // 0000000045F8: D86C0880 2A000015
	ds_read_b32 v43, v21 offset:2240                           // 000000004600: D86C08C0 2B000015
	ds_read_b32 v44, v21 offset:4352                           // 000000004608: D86C1100 2C000015
	ds_read_b32 v45, v21 offset:4416                           // 000000004610: D86C1140 2D000015
	ds_read_b32 v46, v21 offset:6528                           // 000000004618: D86C1980 2E000015
	ds_read_b32 v47, v21 offset:6592                           // 000000004620: D86C19C0 2F000015
	s_waitcnt lgkmcnt(0)                                       // 000000004628: BF8CC07F
	s_mov_b32 s36, -1                                          // 00000000462C: BEA400C1
	s_mov_b32 s37, -1                                          // 000000004630: BEA500C1
	v_mov_b32_e32 v7, 0                                        // 000000004634: 7E0E0280
	s_or_b32 s9, s9, 0x40000                                   // 000000004638: 8709FF09 00040000
	s_mov_b64 exec, s[36:37]                                   // 000000004640: BEFE0124
	v_mov_b32_e32 v6, v34                                      // 000000004644: 7E0C0322
	s_mov_b64 s[60:61], 0                                      // 000000004648: BEBC0180
	v_readlane_b32 s82, v3, 0                                  // 00000000464C: D2890052 00010103
	s_and_b32 s82, s82, 0xffffff                               // 000000004654: 8652FF52 00FFFFFF
	s_cmp_lt_u32 s82, s66                                      // 00000000465C: BF0A4252
	s_cselect_b32 s20, s36, s60                                // 000000004660: 85143C24
	v_readlane_b32 s82, v3, 1                                  // 000000004664: D2890052 00010303
	s_and_b32 s82, s82, 0xffffff                               // 00000000466C: 8652FF52 00FFFFFF
	s_cmp_lt_u32 s82, s66                                      // 000000004674: BF0A4252
	s_cselect_b32 s21, s36, s60                                // 000000004678: 85153C24
	s_mov_b64 exec, s[20:21]                                   // 00000000467C: BEFE0114
	buffer_store_dword v40, v6, s[8:11], 0 offen               // 000000004680: E0701000 80022806
	buffer_store_dword v42, v6, s[8:11], 0 offen offset:128    // 000000004688: E0701080 80022A06
	buffer_store_dword v44, v6, s[8:11], 0 offen offset:256    // 000000004690: E0701100 80022C06
	buffer_store_dword v46, v6, s[8:11], 0 offen offset:384    // 000000004698: E0701180 80022E06
	s_mov_b64 exec, s[36:37]                                   // 0000000046A0: BEFE0124
	v_mov_b32_e32 v6, v35                                      // 0000000046A4: 7E0C0323
	s_mov_b64 s[60:61], 0                                      // 0000000046A8: BEBC0180
	v_readlane_b32 s82, v3, 2                                  // 0000000046AC: D2890052 00010503
	s_and_b32 s82, s82, 0xffffff                               // 0000000046B4: 8652FF52 00FFFFFF
	s_cmp_lt_u32 s82, s66                                      // 0000000046BC: BF0A4252
	s_cselect_b32 s20, s36, s60                                // 0000000046C0: 85143C24
	v_readlane_b32 s82, v3, 3                                  // 0000000046C4: D2890052 00010703
	s_and_b32 s82, s82, 0xffffff                               // 0000000046CC: 8652FF52 00FFFFFF
	s_cmp_lt_u32 s82, s66                                      // 0000000046D4: BF0A4252
	s_cselect_b32 s21, s36, s60                                // 0000000046D8: 85153C24
	s_mov_b64 exec, s[20:21]                                   // 0000000046DC: BEFE0114
	buffer_store_dword v41, v6, s[8:11], 0 offen               // 0000000046E0: E0701000 80022906
	buffer_store_dword v43, v6, s[8:11], 0 offen offset:128    // 0000000046E8: E0701080 80022B06
	buffer_store_dword v45, v6, s[8:11], 0 offen offset:256    // 0000000046F0: E0701100 80022D06
	buffer_store_dword v47, v6, s[8:11], 0 offen offset:384    // 0000000046F8: E0701180 80022F06
	s_mov_b64 exec, s[36:37]                                   // 000000004700: BEFE0124
	s_branch label_0FCD                                        // 000000004704: BF820888

0000000000004708 <label_0742>:
	ds_write_b64 v20, v[40:41]                                 // 000000004708: D89A0000 00002814
	ds_write_b64 v20, v[44:45] offset:2176                     // 000000004710: D89A0880 00002C14
	ds_write_b64 v20, v[48:49] offset:4352                     // 000000004718: D89A1100 00003014
	ds_write_b64 v20, v[52:53] offset:6528                     // 000000004720: D89A1980 00003414
	v_lshrrev_b32_e32 v4, 5, v0                                // 000000004728: 20080085
	v_xor_b32_e32 v5, 1, v4                                    // 00000000472C: 2A0A0881
	s_mul_i32 s60, s65, 2                                      // 000000004730: 923C8241
	s_cmp_eq_u32 s88, 0                                        // 000000004734: BF068058
	s_cselect_b32 s61, 1, 4                                    // 000000004738: 853D8481
	s_mul_i32 s60, s61, s60                                    // 00000000473C: 923C3C3D
	v_readlane_b32 s82, v3, 0                                  // 000000004740: D2890052 00010103
	s_lshr_b32 s61, s82, 24                                    // 000000004748: 8F3D9852
	s_and_b32 s82, s82, 0xffffff                               // 00000000474C: 8652FF52 00FFFFFF
	s_mul_i32 s82, s82, s71                                    // 000000004754: 92524752
	s_mul_i32 s61, s60, s61                                    // 000000004758: 923D3D3C
	s_add_u32 s82, s82, s61                                    // 00000000475C: 80523D52
	v_mul_lo_u32 v6, v5, s82                                   // 000000004760: D2850006 0000A505
	v_readlane_b32 s82, v3, 1                                  // 000000004768: D2890052 00010303
	s_lshr_b32 s61, s82, 24                                    // 000000004770: 8F3D9852
	s_and_b32 s82, s82, 0xffffff                               // 000000004774: 8652FF52 00FFFFFF
	s_mul_i32 s82, s82, s71                                    // 00000000477C: 92524752
	s_mul_i32 s61, s60, s61                                    // 000000004780: 923D3D3C
	s_add_u32 s82, s82, s61                                    // 000000004784: 80523D52
	v_mul_lo_u32 v7, v4, s82                                   // 000000004788: D2850007 0000A504
	v_add_u32_e32 v34, v6, v7                                  // 000000004790: 68440F06
	v_readlane_b32 s82, v3, 2                                  // 000000004794: D2890052 00010503
	s_lshr_b32 s61, s82, 24                                    // 00000000479C: 8F3D9852
	s_and_b32 s82, s82, 0xffffff                               // 0000000047A0: 8652FF52 00FFFFFF
	s_mul_i32 s82, s82, s71                                    // 0000000047A8: 92524752
	s_mul_i32 s61, s60, s61                                    // 0000000047AC: 923D3D3C
	s_add_u32 s82, s82, s61                                    // 0000000047B0: 80523D52
	v_mul_lo_u32 v6, v5, s82                                   // 0000000047B4: D2850006 0000A505
	v_readlane_b32 s82, v3, 3                                  // 0000000047BC: D2890052 00010703
	s_lshr_b32 s61, s82, 24                                    // 0000000047C4: 8F3D9852
	s_and_b32 s82, s82, 0xffffff                               // 0000000047C8: 8652FF52 00FFFFFF
	s_mul_i32 s82, s82, s71                                    // 0000000047D0: 92524752
	s_mul_i32 s61, s60, s61                                    // 0000000047D4: 923D3D3C
	s_add_u32 s82, s82, s61                                    // 0000000047D8: 80523D52
	v_mul_lo_u32 v7, v4, s82                                   // 0000000047DC: D2850007 0000A504
	v_add_u32_e32 v35, v6, v7                                  // 0000000047E4: 68460F06
	v_and_b32_e32 v4, 31, v0                                   // 0000000047E8: 2608009F
	v_lshrrev_b32_e32 v4, 1, v4                                // 0000000047EC: 20080881
	s_cmp_eq_u32 s88, 0                                        // 0000000047F0: BF068058
	s_cselect_b32 s61, 2, 4                                    // 0000000047F4: 853D8482
	v_mul_lo_u32 v4, v4, s61                                   // 0000000047F8: D2850004 00007B04
	v_and_b32_e64 v5, v0, 1                                    // 000000004800: D1130005 00010300
	v_add_u32_e32 v4, v4, v5                                   // 000000004808: 68080B04
	v_lshlrev_b32_e32 v4, 2, v4                                // 00000000480C: 24080882
	v_add_u32_e32 v34, v34, v4                                 // 000000004810: 68440922
	v_add_u32_e32 v35, v35, v4                                 // 000000004814: 68460923
	s_waitcnt lgkmcnt(0)                                       // 000000004818: BF8CC07F
	s_barrier                                                  // 00000000481C: BF8A0000
	ds_read_b32 v40, v21                                       // 000000004820: D86C0000 28000015
	ds_read_b32 v41, v21 offset:64                             // 000000004828: D86C0040 29000015
	ds_read_b32 v44, v21 offset:2176                           // 000000004830: D86C0880 2C000015
	ds_read_b32 v45, v21 offset:2240                           // 000000004838: D86C08C0 2D000015
	ds_read_b32 v48, v21 offset:4352                           // 000000004840: D86C1100 30000015
	ds_read_b32 v49, v21 offset:4416                           // 000000004848: D86C1140 31000015
	ds_read_b32 v52, v21 offset:6528                           // 000000004850: D86C1980 34000015
	ds_read_b32 v53, v21 offset:6592                           // 000000004858: D86C19C0 35000015
	s_waitcnt lgkmcnt(0)                                       // 000000004860: BF8CC07F
	s_mov_b32 s36, -1                                          // 000000004864: BEA400C1
	s_mov_b32 s37, -1                                          // 000000004868: BEA500C1
	v_mov_b32_e32 v7, 0                                        // 00000000486C: 7E0E0280
	s_mov_b64 exec, s[36:37]                                   // 000000004870: BEFE0124
	v_mov_b32_e32 v6, v34                                      // 000000004874: 7E0C0322
	s_mov_b64 s[60:61], 0                                      // 000000004878: BEBC0180
	v_readlane_b32 s82, v3, 0                                  // 00000000487C: D2890052 00010103
	s_and_b32 s82, s82, 0xffffff                               // 000000004884: 8652FF52 00FFFFFF
	s_cmp_lt_u32 s82, s66                                      // 00000000488C: BF0A4252
	s_cselect_b32 s20, s36, s60                                // 000000004890: 85143C24
	v_readlane_b32 s82, v3, 1                                  // 000000004894: D2890052 00010303
	s_and_b32 s82, s82, 0xffffff                               // 00000000489C: 8652FF52 00FFFFFF
	s_cmp_lt_u32 s82, s66                                      // 0000000048A4: BF0A4252
	s_cselect_b32 s21, s36, s60                                // 0000000048A8: 85153C24
	s_mov_b64 exec, s[20:21]                                   // 0000000048AC: BEFE0114
	global_atomic_add_f32 v6, v40, s[8:9]                      // 0000000048B0: DD348000 00082806
	global_atomic_add_f32 v6, v44, s[8:9] offset:256           // 0000000048B8: DD348100 00082C06
	global_atomic_add_f32 v6, v48, s[8:9] offset:512           // 0000000048C0: DD348200 00083006
	global_atomic_add_f32 v6, v52, s[8:9] offset:768           // 0000000048C8: DD348300 00083406
	s_mov_b64 exec, s[36:37]                                   // 0000000048D0: BEFE0124
	v_mov_b32_e32 v6, v35                                      // 0000000048D4: 7E0C0323
	s_mov_b64 s[60:61], 0                                      // 0000000048D8: BEBC0180
	v_readlane_b32 s82, v3, 2                                  // 0000000048DC: D2890052 00010503
	s_and_b32 s82, s82, 0xffffff                               // 0000000048E4: 8652FF52 00FFFFFF
	s_cmp_lt_u32 s82, s66                                      // 0000000048EC: BF0A4252
	s_cselect_b32 s20, s36, s60                                // 0000000048F0: 85143C24
	v_readlane_b32 s82, v3, 3                                  // 0000000048F4: D2890052 00010703
	s_and_b32 s82, s82, 0xffffff                               // 0000000048FC: 8652FF52 00FFFFFF
	s_cmp_lt_u32 s82, s66                                      // 000000004904: BF0A4252
	s_cselect_b32 s21, s36, s60                                // 000000004908: 85153C24
	s_mov_b64 exec, s[20:21]                                   // 00000000490C: BEFE0114
	global_atomic_add_f32 v6, v41, s[8:9]                      // 000000004910: DD348000 00082906
	global_atomic_add_f32 v6, v45, s[8:9] offset:256           // 000000004918: DD348100 00082D06
	global_atomic_add_f32 v6, v49, s[8:9] offset:512           // 000000004920: DD348200 00083106
	global_atomic_add_f32 v6, v53, s[8:9] offset:768           // 000000004928: DD348300 00083506
	s_mov_b64 exec, s[36:37]                                   // 000000004930: BEFE0124
	ds_write_b64 v20, v[42:43]                                 // 000000004934: D89A0000 00002A14
	ds_write_b64 v20, v[46:47] offset:2176                     // 00000000493C: D89A0880 00002E14
	ds_write_b64 v20, v[50:51] offset:4352                     // 000000004944: D89A1100 00003214
	ds_write_b64 v20, v[54:55] offset:6528                     // 00000000494C: D89A1980 00003614
	s_waitcnt lgkmcnt(0)                                       // 000000004954: BF8CC07F
	s_barrier                                                  // 000000004958: BF8A0000
	ds_read_b32 v42, v21                                       // 00000000495C: D86C0000 2A000015
	ds_read_b32 v43, v21 offset:64                             // 000000004964: D86C0040 2B000015
	ds_read_b32 v46, v21 offset:2176                           // 00000000496C: D86C0880 2E000015
	ds_read_b32 v47, v21 offset:2240                           // 000000004974: D86C08C0 2F000015
	ds_read_b32 v50, v21 offset:4352                           // 00000000497C: D86C1100 32000015
	ds_read_b32 v51, v21 offset:4416                           // 000000004984: D86C1140 33000015
	ds_read_b32 v54, v21 offset:6528                           // 00000000498C: D86C1980 36000015
	ds_read_b32 v55, v21 offset:6592                           // 000000004994: D86C19C0 37000015
	s_waitcnt lgkmcnt(0)                                       // 00000000499C: BF8CC07F
	v_mov_b32_e32 v7, 0                                        // 0000000049A0: 7E0E0280
	s_mov_b64 exec, s[36:37]                                   // 0000000049A4: BEFE0124
	v_mov_b32_e32 v6, v34                                      // 0000000049A8: 7E0C0322
	s_mov_b64 s[60:61], 0                                      // 0000000049AC: BEBC0180
	v_readlane_b32 s82, v3, 0                                  // 0000000049B0: D2890052 00010103
	s_and_b32 s82, s82, 0xffffff                               // 0000000049B8: 8652FF52 00FFFFFF
	s_cmp_lt_u32 s82, s66                                      // 0000000049C0: BF0A4252
	s_cselect_b32 s20, s36, s60                                // 0000000049C4: 85143C24
	v_readlane_b32 s82, v3, 1                                  // 0000000049C8: D2890052 00010303
	s_and_b32 s82, s82, 0xffffff                               // 0000000049D0: 8652FF52 00FFFFFF
	s_cmp_lt_u32 s82, s66                                      // 0000000049D8: BF0A4252
	s_cselect_b32 s21, s36, s60                                // 0000000049DC: 85153C24
	s_mov_b64 exec, s[20:21]                                   // 0000000049E0: BEFE0114
	global_atomic_add_f32 v6, v42, s[8:9] offset:8             // 0000000049E4: DD348008 00082A06
	global_atomic_add_f32 v6, v46, s[8:9] offset:264           // 0000000049EC: DD348108 00082E06
	global_atomic_add_f32 v6, v50, s[8:9] offset:520           // 0000000049F4: DD348208 00083206
	global_atomic_add_f32 v6, v54, s[8:9] offset:776           // 0000000049FC: DD348308 00083606
	s_mov_b64 exec, s[36:37]                                   // 000000004A04: BEFE0124
	v_mov_b32_e32 v6, v35                                      // 000000004A08: 7E0C0323
	s_mov_b64 s[60:61], 0                                      // 000000004A0C: BEBC0180
	v_readlane_b32 s82, v3, 2                                  // 000000004A10: D2890052 00010503
	s_and_b32 s82, s82, 0xffffff                               // 000000004A18: 8652FF52 00FFFFFF
	s_cmp_lt_u32 s82, s66                                      // 000000004A20: BF0A4252
	s_cselect_b32 s20, s36, s60                                // 000000004A24: 85143C24
	v_readlane_b32 s82, v3, 3                                  // 000000004A28: D2890052 00010703
	s_and_b32 s82, s82, 0xffffff                               // 000000004A30: 8652FF52 00FFFFFF
	s_cmp_lt_u32 s82, s66                                      // 000000004A38: BF0A4252
	s_cselect_b32 s21, s36, s60                                // 000000004A3C: 85153C24
	s_mov_b64 exec, s[20:21]                                   // 000000004A40: BEFE0114
	global_atomic_add_f32 v6, v43, s[8:9] offset:8             // 000000004A44: DD348008 00082B06
	global_atomic_add_f32 v6, v47, s[8:9] offset:264           // 000000004A4C: DD348108 00082F06
	global_atomic_add_f32 v6, v51, s[8:9] offset:520           // 000000004A54: DD348208 00083306
	global_atomic_add_f32 v6, v55, s[8:9] offset:776           // 000000004A5C: DD348308 00083706
	s_mov_b64 exec, s[36:37]                                   // 000000004A64: BEFE0124
	ds_write_b64 v20, v[56:57]                                 // 000000004A68: D89A0000 00003814
	ds_write_b64 v20, v[60:61] offset:2176                     // 000000004A70: D89A0880 00003C14
	ds_write_b64 v20, v[64:65] offset:4352                     // 000000004A78: D89A1100 00004014
	ds_write_b64 v20, v[68:69] offset:6528                     // 000000004A80: D89A1980 00004414
	s_waitcnt lgkmcnt(0)                                       // 000000004A88: BF8CC07F
	s_barrier                                                  // 000000004A8C: BF8A0000
	ds_read_b32 v56, v21                                       // 000000004A90: D86C0000 38000015
	ds_read_b32 v57, v21 offset:64                             // 000000004A98: D86C0040 39000015
	ds_read_b32 v60, v21 offset:2176                           // 000000004AA0: D86C0880 3C000015
	ds_read_b32 v61, v21 offset:2240                           // 000000004AA8: D86C08C0 3D000015
	ds_read_b32 v64, v21 offset:4352                           // 000000004AB0: D86C1100 40000015
	ds_read_b32 v65, v21 offset:4416                           // 000000004AB8: D86C1140 41000015
	ds_read_b32 v68, v21 offset:6528                           // 000000004AC0: D86C1980 44000015
	ds_read_b32 v69, v21 offset:6592                           // 000000004AC8: D86C19C0 45000015
	s_mul_i32 s60, s65, 4                                      // 000000004AD0: 923C8441
	s_add_u32 s8, s60, s8                                      // 000000004AD4: 8008083C
	s_addc_u32 s9, 0, s9                                       // 000000004AD8: 82090980
	s_waitcnt lgkmcnt(0)                                       // 000000004ADC: BF8CC07F
	v_mov_b32_e32 v7, 0                                        // 000000004AE0: 7E0E0280
	s_mov_b64 exec, s[36:37]                                   // 000000004AE4: BEFE0124
	v_mov_b32_e32 v6, v34                                      // 000000004AE8: 7E0C0322
	s_mov_b64 s[60:61], 0                                      // 000000004AEC: BEBC0180
	v_readlane_b32 s82, v3, 0                                  // 000000004AF0: D2890052 00010103
	s_and_b32 s82, s82, 0xffffff                               // 000000004AF8: 8652FF52 00FFFFFF
	s_cmp_lt_u32 s82, s66                                      // 000000004B00: BF0A4252
	s_cselect_b32 s20, s36, s60                                // 000000004B04: 85143C24
	v_readlane_b32 s82, v3, 1                                  // 000000004B08: D2890052 00010303
	s_and_b32 s82, s82, 0xffffff                               // 000000004B10: 8652FF52 00FFFFFF
	s_cmp_lt_u32 s82, s66                                      // 000000004B18: BF0A4252
	s_cselect_b32 s21, s36, s60                                // 000000004B1C: 85153C24
	s_mov_b64 exec, s[20:21]                                   // 000000004B20: BEFE0114
	global_atomic_add_f32 v6, v56, s[8:9]                      // 000000004B24: DD348000 00083806
	global_atomic_add_f32 v6, v60, s[8:9] offset:256           // 000000004B2C: DD348100 00083C06
	global_atomic_add_f32 v6, v64, s[8:9] offset:512           // 000000004B34: DD348200 00084006
	global_atomic_add_f32 v6, v68, s[8:9] offset:768           // 000000004B3C: DD348300 00084406
	s_mov_b64 exec, s[36:37]                                   // 000000004B44: BEFE0124
	v_mov_b32_e32 v6, v35                                      // 000000004B48: 7E0C0323
	s_mov_b64 s[60:61], 0                                      // 000000004B4C: BEBC0180
	v_readlane_b32 s82, v3, 2                                  // 000000004B50: D2890052 00010503
	s_and_b32 s82, s82, 0xffffff                               // 000000004B58: 8652FF52 00FFFFFF
	s_cmp_lt_u32 s82, s66                                      // 000000004B60: BF0A4252
	s_cselect_b32 s20, s36, s60                                // 000000004B64: 85143C24
	v_readlane_b32 s82, v3, 3                                  // 000000004B68: D2890052 00010703
	s_and_b32 s82, s82, 0xffffff                               // 000000004B70: 8652FF52 00FFFFFF
	s_cmp_lt_u32 s82, s66                                      // 000000004B78: BF0A4252
	s_cselect_b32 s21, s36, s60                                // 000000004B7C: 85153C24
	s_mov_b64 exec, s[20:21]                                   // 000000004B80: BEFE0114
	global_atomic_add_f32 v6, v57, s[8:9]                      // 000000004B84: DD348000 00083906
	global_atomic_add_f32 v6, v61, s[8:9] offset:256           // 000000004B8C: DD348100 00083D06
	global_atomic_add_f32 v6, v65, s[8:9] offset:512           // 000000004B94: DD348200 00084106
	global_atomic_add_f32 v6, v69, s[8:9] offset:768           // 000000004B9C: DD348300 00084506
	s_mov_b64 exec, s[36:37]                                   // 000000004BA4: BEFE0124
	ds_write_b64 v20, v[58:59]                                 // 000000004BA8: D89A0000 00003A14
	ds_write_b64 v20, v[62:63] offset:2176                     // 000000004BB0: D89A0880 00003E14
	ds_write_b64 v20, v[66:67] offset:4352                     // 000000004BB8: D89A1100 00004214
	ds_write_b64 v20, v[70:71] offset:6528                     // 000000004BC0: D89A1980 00004614
	s_waitcnt lgkmcnt(0)                                       // 000000004BC8: BF8CC07F
	s_barrier                                                  // 000000004BCC: BF8A0000
	ds_read_b32 v58, v21                                       // 000000004BD0: D86C0000 3A000015
	ds_read_b32 v59, v21 offset:64                             // 000000004BD8: D86C0040 3B000015
	ds_read_b32 v62, v21 offset:2176                           // 000000004BE0: D86C0880 3E000015
	ds_read_b32 v63, v21 offset:2240                           // 000000004BE8: D86C08C0 3F000015
	ds_read_b32 v66, v21 offset:4352                           // 000000004BF0: D86C1100 42000015
	ds_read_b32 v67, v21 offset:4416                           // 000000004BF8: D86C1140 43000015
	ds_read_b32 v70, v21 offset:6528                           // 000000004C00: D86C1980 46000015
	ds_read_b32 v71, v21 offset:6592                           // 000000004C08: D86C19C0 47000015
	s_waitcnt lgkmcnt(0)                                       // 000000004C10: BF8CC07F
	v_mov_b32_e32 v7, 0                                        // 000000004C14: 7E0E0280
	s_mov_b64 exec, s[36:37]                                   // 000000004C18: BEFE0124
	v_mov_b32_e32 v6, v34                                      // 000000004C1C: 7E0C0322
	s_mov_b64 s[60:61], 0                                      // 000000004C20: BEBC0180
	v_readlane_b32 s82, v3, 0                                  // 000000004C24: D2890052 00010103
	s_and_b32 s82, s82, 0xffffff                               // 000000004C2C: 8652FF52 00FFFFFF
	s_cmp_lt_u32 s82, s66                                      // 000000004C34: BF0A4252
	s_cselect_b32 s20, s36, s60                                // 000000004C38: 85143C24
	v_readlane_b32 s82, v3, 1                                  // 000000004C3C: D2890052 00010303
	s_and_b32 s82, s82, 0xffffff                               // 000000004C44: 8652FF52 00FFFFFF
	s_cmp_lt_u32 s82, s66                                      // 000000004C4C: BF0A4252
	s_cselect_b32 s21, s36, s60                                // 000000004C50: 85153C24
	s_mov_b64 exec, s[20:21]                                   // 000000004C54: BEFE0114
	global_atomic_add_f32 v6, v58, s[8:9] offset:8             // 000000004C58: DD348008 00083A06
	global_atomic_add_f32 v6, v62, s[8:9] offset:264           // 000000004C60: DD348108 00083E06
	global_atomic_add_f32 v6, v66, s[8:9] offset:520           // 000000004C68: DD348208 00084206
	global_atomic_add_f32 v6, v70, s[8:9] offset:776           // 000000004C70: DD348308 00084606
	s_mov_b64 exec, s[36:37]                                   // 000000004C78: BEFE0124
	v_mov_b32_e32 v6, v35                                      // 000000004C7C: 7E0C0323
	s_mov_b64 s[60:61], 0                                      // 000000004C80: BEBC0180
	v_readlane_b32 s82, v3, 2                                  // 000000004C84: D2890052 00010503
	s_and_b32 s82, s82, 0xffffff                               // 000000004C8C: 8652FF52 00FFFFFF
	s_cmp_lt_u32 s82, s66                                      // 000000004C94: BF0A4252
	s_cselect_b32 s20, s36, s60                                // 000000004C98: 85143C24
	v_readlane_b32 s82, v3, 3                                  // 000000004C9C: D2890052 00010703
	s_and_b32 s82, s82, 0xffffff                               // 000000004CA4: 8652FF52 00FFFFFF
	s_cmp_lt_u32 s82, s66                                      // 000000004CAC: BF0A4252
	s_cselect_b32 s21, s36, s60                                // 000000004CB0: 85153C24
	s_mov_b64 exec, s[20:21]                                   // 000000004CB4: BEFE0114
	global_atomic_add_f32 v6, v59, s[8:9] offset:8             // 000000004CB8: DD348008 00083B06
	global_atomic_add_f32 v6, v63, s[8:9] offset:264           // 000000004CC0: DD348108 00083F06
	global_atomic_add_f32 v6, v67, s[8:9] offset:520           // 000000004CC8: DD348208 00084306
	global_atomic_add_f32 v6, v71, s[8:9] offset:776           // 000000004CD0: DD348308 00084706
	s_mov_b64 exec, s[36:37]                                   // 000000004CD8: BEFE0124
	s_branch label_0FCD                                        // 000000004CDC: BF820712

0000000000004ce0 <label_08BB>:
	s_waitcnt vmcnt(10) lgkmcnt(0)                             // 000000004CE0: BF8C007A
	v_mfma_f32_16x16x32_fp8_fp8 v[40:43], a[16:17], a[0:1], v[40:43]// 000000004CE4: D3F30028 1CA20110
	buffer_load_dwordx4 a[80:83], v36, s[24:27], 0 offen       // 000000004CEC: E05C1000 80865024
	v_mfma_f32_16x16x32_fp8_fp8 v[40:43], a[18:19], a[2:3], v[40:43]// 000000004CF4: D3F30028 1CA20512
	v_mfma_f32_16x16x32_fp8_fp8 v[40:43], a[20:21], a[4:5], v[40:43]// 000000004CFC: D3F30028 1CA20914
	v_mfma_f32_16x16x32_fp8_fp8 v[40:43], a[22:23], a[6:7], v[40:43]// 000000004D04: D3F30028 1CA20D16
	v_mfma_f32_16x16x32_fp8_fp8 v[44:47], a[24:25], a[0:1], v[44:47]// 000000004D0C: D3F3002C 1CB20118
	buffer_load_dwordx4 a[84:87], v36, s[24:27], 0 offen offset:1024// 000000004D14: E05C1400 80865424
	v_mfma_f32_16x16x32_fp8_fp8 v[44:47], a[26:27], a[2:3], v[44:47]// 000000004D1C: D3F3002C 1CB2051A
	v_mfma_f32_16x16x32_fp8_fp8 v[44:47], a[28:29], a[4:5], v[44:47]// 000000004D24: D3F3002C 1CB2091C
	v_mfma_f32_16x16x32_fp8_fp8 v[44:47], a[30:31], a[6:7], v[44:47]// 000000004D2C: D3F3002C 1CB20D1E
	v_mfma_f32_16x16x32_fp8_fp8 v[48:51], a[32:33], a[0:1], v[48:51]// 000000004D34: D3F30030 1CC20120
	buffer_load_dwordx4 a[88:91], v37, s[24:27], 0 offen       // 000000004D3C: E05C1000 80865825
	v_mfma_f32_16x16x32_fp8_fp8 v[48:51], a[34:35], a[2:3], v[48:51]// 000000004D44: D3F30030 1CC20522
	v_mfma_f32_16x16x32_fp8_fp8 v[48:51], a[36:37], a[4:5], v[48:51]// 000000004D4C: D3F30030 1CC20924
	v_mfma_f32_16x16x32_fp8_fp8 v[48:51], a[38:39], a[6:7], v[48:51]// 000000004D54: D3F30030 1CC20D26
	v_mfma_f32_16x16x32_fp8_fp8 v[52:55], a[40:41], a[0:1], v[52:55]// 000000004D5C: D3F30034 1CD20128
	buffer_load_dwordx4 a[92:95], v37, s[24:27], 0 offen offset:1024// 000000004D64: E05C1400 80865C25
	v_mfma_f32_16x16x32_fp8_fp8 v[52:55], a[42:43], a[2:3], v[52:55]// 000000004D6C: D3F30034 1CD2052A
	v_mfma_f32_16x16x32_fp8_fp8 v[52:55], a[44:45], a[4:5], v[52:55]// 000000004D74: D3F30034 1CD2092C
	v_mfma_f32_16x16x32_fp8_fp8 v[52:55], a[46:47], a[6:7], v[52:55]// 000000004D7C: D3F30034 1CD20D2E
	buffer_load_dwordx4 a[96:99], v38, s[24:27], 0 offen       // 000000004D84: E05C1000 80866026
	buffer_load_dwordx4 a[100:103], v38, s[24:27], 0 offen offset:1024// 000000004D8C: E05C1400 80866426
	buffer_load_dwordx4 a[104:107], v39, s[24:27], 0 offen     // 000000004D94: E05C1000 80866827
	buffer_load_dwordx4 a[108:111], v39, s[24:27], 0 offen offset:1024// 000000004D9C: E05C1400 80866C27
	buffer_load_dword v34, s[20:23], 0 offen lds               // 000000004DA4: E0511000 80050022
	s_add_u32 m0, 0x100, s50                                   // 000000004DAC: 807C32FF 00000100
	buffer_load_dword v35, s[20:23], 0 offen lds               // 000000004DB4: E0511000 80050023
	s_add_u32 m0, 0, s48                                       // 000000004DBC: 807C3080
	s_waitcnt vmcnt(10)                                        // 000000004DC0: BF8C0F7A
	s_barrier                                                  // 000000004DC4: BF8A0000
	v_mfma_f32_16x16x32_fp8_fp8 v[56:59], a[48:49], a[0:1], v[56:59]// 000000004DC8: D3F30038 1CE20130
	buffer_load_dwordx4 a[16:19], v36, s[84:87], 0 offen       // 000000004DD0: E05C1000 80951024
	v_mfma_f32_16x16x32_fp8_fp8 v[56:59], a[50:51], a[2:3], v[56:59]// 000000004DD8: D3F30038 1CE20532
	v_mfma_f32_16x16x32_fp8_fp8 v[56:59], a[52:53], a[4:5], v[56:59]// 000000004DE0: D3F30038 1CE20934
	ds_read_b128 a[8:11], v2 offset:2176                       // 000000004DE8: DBFE0880 08000002
	ds_read_b128 a[12:15], v2 offset:2240                      // 000000004DF0: DBFE08C0 0C000002
	v_mfma_f32_16x16x32_fp8_fp8 v[56:59], a[54:55], a[6:7], v[56:59]// 000000004DF8: D3F30038 1CE20D36
	v_mfma_f32_16x16x32_fp8_fp8 v[60:63], a[56:57], a[0:1], v[60:63]// 000000004E00: D3F3003C 1CF20138
	buffer_load_dwordx4 a[20:23], v36, s[84:87], 0 offen offset:1024// 000000004E08: E05C1400 80951424
	v_mfma_f32_16x16x32_fp8_fp8 v[60:63], a[58:59], a[2:3], v[60:63]// 000000004E10: D3F3003C 1CF2053A
	v_mfma_f32_16x16x32_fp8_fp8 v[60:63], a[60:61], a[4:5], v[60:63]// 000000004E18: D3F3003C 1CF2093C
	v_mfma_f32_16x16x32_fp8_fp8 v[60:63], a[62:63], a[6:7], v[60:63]// 000000004E20: D3F3003C 1CF20D3E
	v_mfma_f32_16x16x32_fp8_fp8 v[64:67], a[64:65], a[0:1], v[64:67]// 000000004E28: D3F30040 1D020140
	buffer_load_dwordx4 a[24:27], v37, s[84:87], 0 offen       // 000000004E30: E05C1000 80951825
	s_add_u32 s60, 0x180, s80                                  // 000000004E38: 803C50FF 00000180
	s_cmp_lt_u32 s60, s81                                      // 000000004E40: BF0A513C
	s_cselect_b32 s57, s57, 0                                  // 000000004E44: 85398039
	v_mfma_f32_16x16x32_fp8_fp8 v[64:67], a[66:67], a[2:3], v[64:67]// 000000004E48: D3F30040 1D020542
	s_add_u32 s60, 0x100, s80                                  // 000000004E50: 803C50FF 00000100
	s_cmp_lt_u32 s60, s81                                      // 000000004E58: BF0A513C
	s_cselect_b32 s58, s58, 0                                  // 000000004E5C: 853A803A
	v_mfma_f32_16x16x32_fp8_fp8 v[64:67], a[68:69], a[4:5], v[64:67]// 000000004E60: D3F30040 1D020944
	s_add_u32 s60, 0x100, s80                                  // 000000004E68: 803C50FF 00000100
	s_cmp_lt_u32 s60, s81                                      // 000000004E70: BF0A513C
	s_cselect_b32 s83, s83, 0                                  // 000000004E74: 85538053
	v_mfma_f32_16x16x32_fp8_fp8 v[64:67], a[70:71], a[6:7], v[64:67]// 000000004E78: D3F30040 1D020D46
	s_add_u32 s24, s58, s24                                    // 000000004E80: 8018183A
	s_addc_u32 s25, 0, s25                                     // 000000004E84: 82191980
	v_mfma_f32_16x16x32_fp8_fp8 v[68:71], a[72:73], a[0:1], v[68:71]// 000000004E88: D3F30044 1D120148
	buffer_load_dwordx4 a[28:31], v37, s[84:87], 0 offen offset:1024// 000000004E90: E05C1400 80951C25
	s_add_u32 s20, s57, s20                                    // 000000004E98: 80141439
	s_addc_u32 s21, 0, s21                                     // 000000004E9C: 82151580
	v_mfma_f32_16x16x32_fp8_fp8 v[68:71], a[74:75], a[2:3], v[68:71]// 000000004EA0: D3F30044 1D12054A
	v_mfma_f32_16x16x32_fp8_fp8 v[68:71], a[76:77], a[4:5], v[68:71]// 000000004EA8: D3F30044 1D12094C
	v_mfma_f32_16x16x32_fp8_fp8 v[68:71], a[78:79], a[6:7], v[68:71]// 000000004EB0: D3F30044 1D120D4E
	buffer_load_dwordx4 a[32:35], v38, s[84:87], 0 offen       // 000000004EB8: E05C1000 80952026
	buffer_load_dwordx4 a[36:39], v38, s[84:87], 0 offen offset:1024// 000000004EC0: E05C1400 80952426
	buffer_load_dwordx4 a[40:43], v39, s[84:87], 0 offen       // 000000004EC8: E05C1000 80952827
	buffer_load_dwordx4 a[44:47], v39, s[84:87], 0 offen offset:1024// 000000004ED0: E05C1400 80952C27
	s_add_u32 s84, s83, s84                                    // 000000004ED8: 80545453
	s_addc_u32 s85, 0, s85                                     // 000000004EDC: 82555580
	s_addk_i32 s80, 0x80                                       // 000000004EE0: B7500080
	s_cmp_lt_i32 s80, s81                                      // 000000004EE4: BF045150
	s_cbranch_scc0 label_0BCE                                  // 000000004EE8: BF840290
	s_waitcnt vmcnt(10) lgkmcnt(0)                             // 000000004EEC: BF8C007A
	v_mfma_f32_16x16x32_fp8_fp8 v[40:43], a[80:81], a[8:9], v[40:43]// 000000004EF0: D3F30028 1CA21150
	buffer_load_dwordx4 a[48:51], v36, s[24:27], 0 offen       // 000000004EF8: E05C1000 80863024
	v_mfma_f32_16x16x32_fp8_fp8 v[40:43], a[82:83], a[10:11], v[40:43]// 000000004F00: D3F30028 1CA21552
	v_mfma_f32_16x16x32_fp8_fp8 v[40:43], a[84:85], a[12:13], v[40:43]// 000000004F08: D3F30028 1CA21954
	v_mfma_f32_16x16x32_fp8_fp8 v[40:43], a[86:87], a[14:15], v[40:43]// 000000004F10: D3F30028 1CA21D56
	v_mfma_f32_16x16x32_fp8_fp8 v[44:47], a[88:89], a[8:9], v[44:47]// 000000004F18: D3F3002C 1CB21158
	buffer_load_dwordx4 a[52:55], v36, s[24:27], 0 offen offset:1024// 000000004F20: E05C1400 80863424
	v_mfma_f32_16x16x32_fp8_fp8 v[44:47], a[90:91], a[10:11], v[44:47]// 000000004F28: D3F3002C 1CB2155A
	v_mfma_f32_16x16x32_fp8_fp8 v[44:47], a[92:93], a[12:13], v[44:47]// 000000004F30: D3F3002C 1CB2195C
	v_mfma_f32_16x16x32_fp8_fp8 v[44:47], a[94:95], a[14:15], v[44:47]// 000000004F38: D3F3002C 1CB21D5E
	v_mfma_f32_16x16x32_fp8_fp8 v[48:51], a[96:97], a[8:9], v[48:51]// 000000004F40: D3F30030 1CC21160
	buffer_load_dwordx4 a[56:59], v37, s[24:27], 0 offen       // 000000004F48: E05C1000 80863825
	v_mfma_f32_16x16x32_fp8_fp8 v[48:51], a[98:99], a[10:11], v[48:51]// 000000004F50: D3F30030 1CC21562
	v_mfma_f32_16x16x32_fp8_fp8 v[48:51], a[100:101], a[12:13], v[48:51]// 000000004F58: D3F30030 1CC21964
	v_mfma_f32_16x16x32_fp8_fp8 v[48:51], a[102:103], a[14:15], v[48:51]// 000000004F60: D3F30030 1CC21D66
	v_mfma_f32_16x16x32_fp8_fp8 v[52:55], a[104:105], a[8:9], v[52:55]// 000000004F68: D3F30034 1CD21168
	buffer_load_dwordx4 a[60:63], v37, s[24:27], 0 offen offset:1024// 000000004F70: E05C1400 80863C25
	v_mfma_f32_16x16x32_fp8_fp8 v[52:55], a[106:107], a[10:11], v[52:55]// 000000004F78: D3F30034 1CD2156A
	v_mfma_f32_16x16x32_fp8_fp8 v[52:55], a[108:109], a[12:13], v[52:55]// 000000004F80: D3F30034 1CD2196C
	v_mfma_f32_16x16x32_fp8_fp8 v[52:55], a[110:111], a[14:15], v[52:55]// 000000004F88: D3F30034 1CD21D6E
	buffer_load_dwordx4 a[64:67], v38, s[24:27], 0 offen       // 000000004F90: E05C1000 80864026
	buffer_load_dwordx4 a[68:71], v38, s[24:27], 0 offen offset:1024// 000000004F98: E05C1400 80864426
	buffer_load_dwordx4 a[72:75], v39, s[24:27], 0 offen       // 000000004FA0: E05C1000 80864827
	buffer_load_dwordx4 a[76:79], v39, s[24:27], 0 offen offset:1024// 000000004FA8: E05C1400 80864C27
	buffer_load_dword v34, s[20:23], 0 offen lds               // 000000004FB0: E0511000 80050022
	s_add_u32 m0, 0x100, s48                                   // 000000004FB8: 807C30FF 00000100
	buffer_load_dword v35, s[20:23], 0 offen lds               // 000000004FC0: E0511000 80050023
	s_add_u32 m0, 0, s49                                       // 000000004FC8: 807C3180
	s_waitcnt vmcnt(10)                                        // 000000004FCC: BF8C0F7A
	s_barrier                                                  // 000000004FD0: BF8A0000
	v_mfma_f32_16x16x32_fp8_fp8 v[56:59], a[16:17], a[8:9], v[56:59]// 000000004FD4: D3F30038 1CE21110
	buffer_load_dwordx4 a[80:83], v36, s[84:87], 0 offen       // 000000004FDC: E05C1000 80955024
	v_mfma_f32_16x16x32_fp8_fp8 v[56:59], a[18:19], a[10:11], v[56:59]// 000000004FE4: D3F30038 1CE21512
	v_mfma_f32_16x16x32_fp8_fp8 v[56:59], a[20:21], a[12:13], v[56:59]// 000000004FEC: D3F30038 1CE21914
	ds_read_b128 a[0:3], v2 offset:4352                        // 000000004FF4: DBFE1100 00000002
	ds_read_b128 a[4:7], v2 offset:4416                        // 000000004FFC: DBFE1140 04000002
	v_mfma_f32_16x16x32_fp8_fp8 v[56:59], a[22:23], a[14:15], v[56:59]// 000000005004: D3F30038 1CE21D16
	v_mfma_f32_16x16x32_fp8_fp8 v[60:63], a[24:25], a[8:9], v[60:63]// 00000000500C: D3F3003C 1CF21118
	buffer_load_dwordx4 a[84:87], v36, s[84:87], 0 offen offset:1024// 000000005014: E05C1400 80955424
	v_mfma_f32_16x16x32_fp8_fp8 v[60:63], a[26:27], a[10:11], v[60:63]// 00000000501C: D3F3003C 1CF2151A
	v_mfma_f32_16x16x32_fp8_fp8 v[60:63], a[28:29], a[12:13], v[60:63]// 000000005024: D3F3003C 1CF2191C
	v_mfma_f32_16x16x32_fp8_fp8 v[60:63], a[30:31], a[14:15], v[60:63]// 00000000502C: D3F3003C 1CF21D1E
	v_mfma_f32_16x16x32_fp8_fp8 v[64:67], a[32:33], a[8:9], v[64:67]// 000000005034: D3F30040 1D021120
	buffer_load_dwordx4 a[88:91], v37, s[84:87], 0 offen       // 00000000503C: E05C1000 80955825
	s_add_u32 s60, 0x180, s80                                  // 000000005044: 803C50FF 00000180
	s_cmp_lt_u32 s60, s81                                      // 00000000504C: BF0A513C
	s_cselect_b32 s57, s57, 0                                  // 000000005050: 85398039
	v_mfma_f32_16x16x32_fp8_fp8 v[64:67], a[34:35], a[10:11], v[64:67]// 000000005054: D3F30040 1D021522
	s_add_u32 s60, 0x100, s80                                  // 00000000505C: 803C50FF 00000100
	s_cmp_lt_u32 s60, s81                                      // 000000005064: BF0A513C
	s_cselect_b32 s58, s58, 0                                  // 000000005068: 853A803A
	v_mfma_f32_16x16x32_fp8_fp8 v[64:67], a[36:37], a[12:13], v[64:67]// 00000000506C: D3F30040 1D021924
	s_add_u32 s60, 0x100, s80                                  // 000000005074: 803C50FF 00000100
	s_cmp_lt_u32 s60, s81                                      // 00000000507C: BF0A513C
	s_cselect_b32 s83, s83, 0                                  // 000000005080: 85538053
	v_mfma_f32_16x16x32_fp8_fp8 v[64:67], a[38:39], a[14:15], v[64:67]// 000000005084: D3F30040 1D021D26
	s_add_u32 s24, s58, s24                                    // 00000000508C: 8018183A
	s_addc_u32 s25, 0, s25                                     // 000000005090: 82191980
	v_mfma_f32_16x16x32_fp8_fp8 v[68:71], a[40:41], a[8:9], v[68:71]// 000000005094: D3F30044 1D121128
	buffer_load_dwordx4 a[92:95], v37, s[84:87], 0 offen offset:1024// 00000000509C: E05C1400 80955C25
	s_add_u32 s20, s57, s20                                    // 0000000050A4: 80141439
	s_addc_u32 s21, 0, s21                                     // 0000000050A8: 82151580
	v_mfma_f32_16x16x32_fp8_fp8 v[68:71], a[42:43], a[10:11], v[68:71]// 0000000050AC: D3F30044 1D12152A
	v_mfma_f32_16x16x32_fp8_fp8 v[68:71], a[44:45], a[12:13], v[68:71]// 0000000050B4: D3F30044 1D12192C
	v_mfma_f32_16x16x32_fp8_fp8 v[68:71], a[46:47], a[14:15], v[68:71]// 0000000050BC: D3F30044 1D121D2E
	buffer_load_dwordx4 a[96:99], v38, s[84:87], 0 offen       // 0000000050C4: E05C1000 80956026
	buffer_load_dwordx4 a[100:103], v38, s[84:87], 0 offen offset:1024// 0000000050CC: E05C1400 80956426
	buffer_load_dwordx4 a[104:107], v39, s[84:87], 0 offen     // 0000000050D4: E05C1000 80956827
	buffer_load_dwordx4 a[108:111], v39, s[84:87], 0 offen offset:1024// 0000000050DC: E05C1400 80956C27
	s_add_u32 s84, s83, s84                                    // 0000000050E4: 80545453
	s_addc_u32 s85, 0, s85                                     // 0000000050E8: 82555580
	s_addk_i32 s80, 0x80                                       // 0000000050EC: B7500080
	s_cmp_lt_i32 s80, s81                                      // 0000000050F0: BF045150
	s_cbranch_scc0 label_0BCE                                  // 0000000050F4: BF84020D
	s_waitcnt vmcnt(10) lgkmcnt(0)                             // 0000000050F8: BF8C007A
	v_mfma_f32_16x16x32_fp8_fp8 v[40:43], a[48:49], a[0:1], v[40:43]// 0000000050FC: D3F30028 1CA20130
	buffer_load_dwordx4 a[16:19], v36, s[24:27], 0 offen       // 000000005104: E05C1000 80861024
	v_mfma_f32_16x16x32_fp8_fp8 v[40:43], a[50:51], a[2:3], v[40:43]// 00000000510C: D3F30028 1CA20532
	v_mfma_f32_16x16x32_fp8_fp8 v[40:43], a[52:53], a[4:5], v[40:43]// 000000005114: D3F30028 1CA20934
	v_mfma_f32_16x16x32_fp8_fp8 v[40:43], a[54:55], a[6:7], v[40:43]// 00000000511C: D3F30028 1CA20D36
	v_mfma_f32_16x16x32_fp8_fp8 v[44:47], a[56:57], a[0:1], v[44:47]// 000000005124: D3F3002C 1CB20138
	buffer_load_dwordx4 a[20:23], v36, s[24:27], 0 offen offset:1024// 00000000512C: E05C1400 80861424
	v_mfma_f32_16x16x32_fp8_fp8 v[44:47], a[58:59], a[2:3], v[44:47]// 000000005134: D3F3002C 1CB2053A
	v_mfma_f32_16x16x32_fp8_fp8 v[44:47], a[60:61], a[4:5], v[44:47]// 00000000513C: D3F3002C 1CB2093C
	v_mfma_f32_16x16x32_fp8_fp8 v[44:47], a[62:63], a[6:7], v[44:47]// 000000005144: D3F3002C 1CB20D3E
	v_mfma_f32_16x16x32_fp8_fp8 v[48:51], a[64:65], a[0:1], v[48:51]// 00000000514C: D3F30030 1CC20140
	buffer_load_dwordx4 a[24:27], v37, s[24:27], 0 offen       // 000000005154: E05C1000 80861825
	v_mfma_f32_16x16x32_fp8_fp8 v[48:51], a[66:67], a[2:3], v[48:51]// 00000000515C: D3F30030 1CC20542
	v_mfma_f32_16x16x32_fp8_fp8 v[48:51], a[68:69], a[4:5], v[48:51]// 000000005164: D3F30030 1CC20944
	v_mfma_f32_16x16x32_fp8_fp8 v[48:51], a[70:71], a[6:7], v[48:51]// 00000000516C: D3F30030 1CC20D46
	v_mfma_f32_16x16x32_fp8_fp8 v[52:55], a[72:73], a[0:1], v[52:55]// 000000005174: D3F30034 1CD20148
	buffer_load_dwordx4 a[28:31], v37, s[24:27], 0 offen offset:1024// 00000000517C: E05C1400 80861C25
	v_mfma_f32_16x16x32_fp8_fp8 v[52:55], a[74:75], a[2:3], v[52:55]// 000000005184: D3F30034 1CD2054A
	v_mfma_f32_16x16x32_fp8_fp8 v[52:55], a[76:77], a[4:5], v[52:55]// 00000000518C: D3F30034 1CD2094C
	v_mfma_f32_16x16x32_fp8_fp8 v[52:55], a[78:79], a[6:7], v[52:55]// 000000005194: D3F30034 1CD20D4E
	buffer_load_dwordx4 a[32:35], v38, s[24:27], 0 offen       // 00000000519C: E05C1000 80862026
	buffer_load_dwordx4 a[36:39], v38, s[24:27], 0 offen offset:1024// 0000000051A4: E05C1400 80862426
	buffer_load_dwordx4 a[40:43], v39, s[24:27], 0 offen       // 0000000051AC: E05C1000 80862827
	buffer_load_dwordx4 a[44:47], v39, s[24:27], 0 offen offset:1024// 0000000051B4: E05C1400 80862C27
	buffer_load_dword v34, s[20:23], 0 offen lds               // 0000000051BC: E0511000 80050022
	s_add_u32 m0, 0x100, s49                                   // 0000000051C4: 807C31FF 00000100
	buffer_load_dword v35, s[20:23], 0 offen lds               // 0000000051CC: E0511000 80050023
	s_add_u32 m0, 0, s50                                       // 0000000051D4: 807C3280
	s_waitcnt vmcnt(10)                                        // 0000000051D8: BF8C0F7A
	s_barrier                                                  // 0000000051DC: BF8A0000
	v_mfma_f32_16x16x32_fp8_fp8 v[56:59], a[80:81], a[0:1], v[56:59]// 0000000051E0: D3F30038 1CE20150
	buffer_load_dwordx4 a[48:51], v36, s[84:87], 0 offen       // 0000000051E8: E05C1000 80953024
	v_mfma_f32_16x16x32_fp8_fp8 v[56:59], a[82:83], a[2:3], v[56:59]// 0000000051F0: D3F30038 1CE20552
	v_mfma_f32_16x16x32_fp8_fp8 v[56:59], a[84:85], a[4:5], v[56:59]// 0000000051F8: D3F30038 1CE20954
	ds_read_b128 a[8:11], v2                                   // 000000005200: DBFE0000 08000002
	ds_read_b128 a[12:15], v2 offset:64                        // 000000005208: DBFE0040 0C000002
	v_mfma_f32_16x16x32_fp8_fp8 v[56:59], a[86:87], a[6:7], v[56:59]// 000000005210: D3F30038 1CE20D56
	v_mfma_f32_16x16x32_fp8_fp8 v[60:63], a[88:89], a[0:1], v[60:63]// 000000005218: D3F3003C 1CF20158
	buffer_load_dwordx4 a[52:55], v36, s[84:87], 0 offen offset:1024// 000000005220: E05C1400 80953424
	v_mfma_f32_16x16x32_fp8_fp8 v[60:63], a[90:91], a[2:3], v[60:63]// 000000005228: D3F3003C 1CF2055A
	v_mfma_f32_16x16x32_fp8_fp8 v[60:63], a[92:93], a[4:5], v[60:63]// 000000005230: D3F3003C 1CF2095C
	v_mfma_f32_16x16x32_fp8_fp8 v[60:63], a[94:95], a[6:7], v[60:63]// 000000005238: D3F3003C 1CF20D5E
	v_mfma_f32_16x16x32_fp8_fp8 v[64:67], a[96:97], a[0:1], v[64:67]// 000000005240: D3F30040 1D020160
	buffer_load_dwordx4 a[56:59], v37, s[84:87], 0 offen       // 000000005248: E05C1000 80953825
	s_add_u32 s60, 0x180, s80                                  // 000000005250: 803C50FF 00000180
	s_cmp_lt_u32 s60, s81                                      // 000000005258: BF0A513C
	s_cselect_b32 s57, s57, 0                                  // 00000000525C: 85398039
	v_mfma_f32_16x16x32_fp8_fp8 v[64:67], a[98:99], a[2:3], v[64:67]// 000000005260: D3F30040 1D020562
	s_add_u32 s60, 0x100, s80                                  // 000000005268: 803C50FF 00000100
	s_cmp_lt_u32 s60, s81                                      // 000000005270: BF0A513C
	s_cselect_b32 s58, s58, 0                                  // 000000005274: 853A803A
	v_mfma_f32_16x16x32_fp8_fp8 v[64:67], a[100:101], a[4:5], v[64:67]// 000000005278: D3F30040 1D020964
	s_add_u32 s60, 0x100, s80                                  // 000000005280: 803C50FF 00000100
	s_cmp_lt_u32 s60, s81                                      // 000000005288: BF0A513C
	s_cselect_b32 s83, s83, 0                                  // 00000000528C: 85538053
	v_mfma_f32_16x16x32_fp8_fp8 v[64:67], a[102:103], a[6:7], v[64:67]// 000000005290: D3F30040 1D020D66
	s_add_u32 s24, s58, s24                                    // 000000005298: 8018183A
	s_addc_u32 s25, 0, s25                                     // 00000000529C: 82191980
	v_mfma_f32_16x16x32_fp8_fp8 v[68:71], a[104:105], a[0:1], v[68:71]// 0000000052A0: D3F30044 1D120168
	buffer_load_dwordx4 a[60:63], v37, s[84:87], 0 offen offset:1024// 0000000052A8: E05C1400 80953C25
	s_add_u32 s20, s57, s20                                    // 0000000052B0: 80141439
	s_addc_u32 s21, 0, s21                                     // 0000000052B4: 82151580
	v_mfma_f32_16x16x32_fp8_fp8 v[68:71], a[106:107], a[2:3], v[68:71]// 0000000052B8: D3F30044 1D12056A
	v_mfma_f32_16x16x32_fp8_fp8 v[68:71], a[108:109], a[4:5], v[68:71]// 0000000052C0: D3F30044 1D12096C
	v_mfma_f32_16x16x32_fp8_fp8 v[68:71], a[110:111], a[6:7], v[68:71]// 0000000052C8: D3F30044 1D120D6E
	buffer_load_dwordx4 a[64:67], v38, s[84:87], 0 offen       // 0000000052D0: E05C1000 80954026
	buffer_load_dwordx4 a[68:71], v38, s[84:87], 0 offen offset:1024// 0000000052D8: E05C1400 80954426
	buffer_load_dwordx4 a[72:75], v39, s[84:87], 0 offen       // 0000000052E0: E05C1000 80954827
	buffer_load_dwordx4 a[76:79], v39, s[84:87], 0 offen offset:1024// 0000000052E8: E05C1400 80954C27
	s_add_u32 s84, s83, s84                                    // 0000000052F0: 80545453
	s_addc_u32 s85, 0, s85                                     // 0000000052F4: 82555580
	s_addk_i32 s80, 0x80                                       // 0000000052F8: B7500080
	s_cmp_lt_i32 s80, s81                                      // 0000000052FC: BF045150
	s_cbranch_scc0 label_0BCE                                  // 000000005300: BF84018A
	s_waitcnt vmcnt(10) lgkmcnt(0)                             // 000000005304: BF8C007A
	v_mfma_f32_16x16x32_fp8_fp8 v[40:43], a[16:17], a[8:9], v[40:43]// 000000005308: D3F30028 1CA21110
	buffer_load_dwordx4 a[80:83], v36, s[24:27], 0 offen       // 000000005310: E05C1000 80865024
	v_mfma_f32_16x16x32_fp8_fp8 v[40:43], a[18:19], a[10:11], v[40:43]// 000000005318: D3F30028 1CA21512
	v_mfma_f32_16x16x32_fp8_fp8 v[40:43], a[20:21], a[12:13], v[40:43]// 000000005320: D3F30028 1CA21914
	v_mfma_f32_16x16x32_fp8_fp8 v[40:43], a[22:23], a[14:15], v[40:43]// 000000005328: D3F30028 1CA21D16
	v_mfma_f32_16x16x32_fp8_fp8 v[44:47], a[24:25], a[8:9], v[44:47]// 000000005330: D3F3002C 1CB21118
	buffer_load_dwordx4 a[84:87], v36, s[24:27], 0 offen offset:1024// 000000005338: E05C1400 80865424
	v_mfma_f32_16x16x32_fp8_fp8 v[44:47], a[26:27], a[10:11], v[44:47]// 000000005340: D3F3002C 1CB2151A
	v_mfma_f32_16x16x32_fp8_fp8 v[44:47], a[28:29], a[12:13], v[44:47]// 000000005348: D3F3002C 1CB2191C
	v_mfma_f32_16x16x32_fp8_fp8 v[44:47], a[30:31], a[14:15], v[44:47]// 000000005350: D3F3002C 1CB21D1E
	v_mfma_f32_16x16x32_fp8_fp8 v[48:51], a[32:33], a[8:9], v[48:51]// 000000005358: D3F30030 1CC21120
	buffer_load_dwordx4 a[88:91], v37, s[24:27], 0 offen       // 000000005360: E05C1000 80865825
	v_mfma_f32_16x16x32_fp8_fp8 v[48:51], a[34:35], a[10:11], v[48:51]// 000000005368: D3F30030 1CC21522
	v_mfma_f32_16x16x32_fp8_fp8 v[48:51], a[36:37], a[12:13], v[48:51]// 000000005370: D3F30030 1CC21924
	v_mfma_f32_16x16x32_fp8_fp8 v[48:51], a[38:39], a[14:15], v[48:51]// 000000005378: D3F30030 1CC21D26
	v_mfma_f32_16x16x32_fp8_fp8 v[52:55], a[40:41], a[8:9], v[52:55]// 000000005380: D3F30034 1CD21128
	buffer_load_dwordx4 a[92:95], v37, s[24:27], 0 offen offset:1024// 000000005388: E05C1400 80865C25
	v_mfma_f32_16x16x32_fp8_fp8 v[52:55], a[42:43], a[10:11], v[52:55]// 000000005390: D3F30034 1CD2152A
	v_mfma_f32_16x16x32_fp8_fp8 v[52:55], a[44:45], a[12:13], v[52:55]// 000000005398: D3F30034 1CD2192C
	v_mfma_f32_16x16x32_fp8_fp8 v[52:55], a[46:47], a[14:15], v[52:55]// 0000000053A0: D3F30034 1CD21D2E
	buffer_load_dwordx4 a[96:99], v38, s[24:27], 0 offen       // 0000000053A8: E05C1000 80866026
	buffer_load_dwordx4 a[100:103], v38, s[24:27], 0 offen offset:1024// 0000000053B0: E05C1400 80866426
	buffer_load_dwordx4 a[104:107], v39, s[24:27], 0 offen     // 0000000053B8: E05C1000 80866827
	buffer_load_dwordx4 a[108:111], v39, s[24:27], 0 offen offset:1024// 0000000053C0: E05C1400 80866C27
	buffer_load_dword v34, s[20:23], 0 offen lds               // 0000000053C8: E0511000 80050022
	s_add_u32 m0, 0x100, s50                                   // 0000000053D0: 807C32FF 00000100
	buffer_load_dword v35, s[20:23], 0 offen lds               // 0000000053D8: E0511000 80050023
	s_add_u32 m0, 0, s48                                       // 0000000053E0: 807C3080
	s_waitcnt vmcnt(10)                                        // 0000000053E4: BF8C0F7A
	s_barrier                                                  // 0000000053E8: BF8A0000
	v_mfma_f32_16x16x32_fp8_fp8 v[56:59], a[48:49], a[8:9], v[56:59]// 0000000053EC: D3F30038 1CE21130
	buffer_load_dwordx4 a[16:19], v36, s[84:87], 0 offen       // 0000000053F4: E05C1000 80951024
	v_mfma_f32_16x16x32_fp8_fp8 v[56:59], a[50:51], a[10:11], v[56:59]// 0000000053FC: D3F30038 1CE21532
	v_mfma_f32_16x16x32_fp8_fp8 v[56:59], a[52:53], a[12:13], v[56:59]// 000000005404: D3F30038 1CE21934
	ds_read_b128 a[0:3], v2 offset:2176                        // 00000000540C: DBFE0880 00000002
	ds_read_b128 a[4:7], v2 offset:2240                        // 000000005414: DBFE08C0 04000002
	v_mfma_f32_16x16x32_fp8_fp8 v[56:59], a[54:55], a[14:15], v[56:59]// 00000000541C: D3F30038 1CE21D36
	v_mfma_f32_16x16x32_fp8_fp8 v[60:63], a[56:57], a[8:9], v[60:63]// 000000005424: D3F3003C 1CF21138
	buffer_load_dwordx4 a[20:23], v36, s[84:87], 0 offen offset:1024// 00000000542C: E05C1400 80951424
	v_mfma_f32_16x16x32_fp8_fp8 v[60:63], a[58:59], a[10:11], v[60:63]// 000000005434: D3F3003C 1CF2153A
	v_mfma_f32_16x16x32_fp8_fp8 v[60:63], a[60:61], a[12:13], v[60:63]// 00000000543C: D3F3003C 1CF2193C
	v_mfma_f32_16x16x32_fp8_fp8 v[60:63], a[62:63], a[14:15], v[60:63]// 000000005444: D3F3003C 1CF21D3E
	v_mfma_f32_16x16x32_fp8_fp8 v[64:67], a[64:65], a[8:9], v[64:67]// 00000000544C: D3F30040 1D021140
	buffer_load_dwordx4 a[24:27], v37, s[84:87], 0 offen       // 000000005454: E05C1000 80951825
	s_add_u32 s60, 0x180, s80                                  // 00000000545C: 803C50FF 00000180
	s_cmp_lt_u32 s60, s81                                      // 000000005464: BF0A513C
	s_cselect_b32 s57, s57, 0                                  // 000000005468: 85398039
	v_mfma_f32_16x16x32_fp8_fp8 v[64:67], a[66:67], a[10:11], v[64:67]// 00000000546C: D3F30040 1D021542
	s_add_u32 s60, 0x100, s80                                  // 000000005474: 803C50FF 00000100
	s_cmp_lt_u32 s60, s81                                      // 00000000547C: BF0A513C
	s_cselect_b32 s58, s58, 0                                  // 000000005480: 853A803A
	v_mfma_f32_16x16x32_fp8_fp8 v[64:67], a[68:69], a[12:13], v[64:67]// 000000005484: D3F30040 1D021944
	s_add_u32 s60, 0x100, s80                                  // 00000000548C: 803C50FF 00000100
	s_cmp_lt_u32 s60, s81                                      // 000000005494: BF0A513C
	s_cselect_b32 s83, s83, 0                                  // 000000005498: 85538053
	v_mfma_f32_16x16x32_fp8_fp8 v[64:67], a[70:71], a[14:15], v[64:67]// 00000000549C: D3F30040 1D021D46
	s_add_u32 s24, s58, s24                                    // 0000000054A4: 8018183A
	s_addc_u32 s25, 0, s25                                     // 0000000054A8: 82191980
	v_mfma_f32_16x16x32_fp8_fp8 v[68:71], a[72:73], a[8:9], v[68:71]// 0000000054AC: D3F30044 1D121148
	buffer_load_dwordx4 a[28:31], v37, s[84:87], 0 offen offset:1024// 0000000054B4: E05C1400 80951C25
	s_add_u32 s20, s57, s20                                    // 0000000054BC: 80141439
	s_addc_u32 s21, 0, s21                                     // 0000000054C0: 82151580
	v_mfma_f32_16x16x32_fp8_fp8 v[68:71], a[74:75], a[10:11], v[68:71]// 0000000054C4: D3F30044 1D12154A
	v_mfma_f32_16x16x32_fp8_fp8 v[68:71], a[76:77], a[12:13], v[68:71]// 0000000054CC: D3F30044 1D12194C
	v_mfma_f32_16x16x32_fp8_fp8 v[68:71], a[78:79], a[14:15], v[68:71]// 0000000054D4: D3F30044 1D121D4E
	buffer_load_dwordx4 a[32:35], v38, s[84:87], 0 offen       // 0000000054DC: E05C1000 80952026
	buffer_load_dwordx4 a[36:39], v38, s[84:87], 0 offen offset:1024// 0000000054E4: E05C1400 80952426
	buffer_load_dwordx4 a[40:43], v39, s[84:87], 0 offen       // 0000000054EC: E05C1000 80952827
	buffer_load_dwordx4 a[44:47], v39, s[84:87], 0 offen offset:1024// 0000000054F4: E05C1400 80952C27
	s_add_u32 s84, s83, s84                                    // 0000000054FC: 80545453
	s_addc_u32 s85, 0, s85                                     // 000000005500: 82555580
	s_addk_i32 s80, 0x80                                       // 000000005504: B7500080
	s_cmp_lt_i32 s80, s81                                      // 000000005508: BF045150
	s_cbranch_scc0 label_0BCE                                  // 00000000550C: BF840107
	s_waitcnt vmcnt(10) lgkmcnt(0)                             // 000000005510: BF8C007A
	v_mfma_f32_16x16x32_fp8_fp8 v[40:43], a[80:81], a[0:1], v[40:43]// 000000005514: D3F30028 1CA20150
	buffer_load_dwordx4 a[48:51], v36, s[24:27], 0 offen       // 00000000551C: E05C1000 80863024
	v_mfma_f32_16x16x32_fp8_fp8 v[40:43], a[82:83], a[2:3], v[40:43]// 000000005524: D3F30028 1CA20552
	v_mfma_f32_16x16x32_fp8_fp8 v[40:43], a[84:85], a[4:5], v[40:43]// 00000000552C: D3F30028 1CA20954
	v_mfma_f32_16x16x32_fp8_fp8 v[40:43], a[86:87], a[6:7], v[40:43]// 000000005534: D3F30028 1CA20D56
	v_mfma_f32_16x16x32_fp8_fp8 v[44:47], a[88:89], a[0:1], v[44:47]// 00000000553C: D3F3002C 1CB20158
	buffer_load_dwordx4 a[52:55], v36, s[24:27], 0 offen offset:1024// 000000005544: E05C1400 80863424
	v_mfma_f32_16x16x32_fp8_fp8 v[44:47], a[90:91], a[2:3], v[44:47]// 00000000554C: D3F3002C 1CB2055A
	v_mfma_f32_16x16x32_fp8_fp8 v[44:47], a[92:93], a[4:5], v[44:47]// 000000005554: D3F3002C 1CB2095C
	v_mfma_f32_16x16x32_fp8_fp8 v[44:47], a[94:95], a[6:7], v[44:47]// 00000000555C: D3F3002C 1CB20D5E
	v_mfma_f32_16x16x32_fp8_fp8 v[48:51], a[96:97], a[0:1], v[48:51]// 000000005564: D3F30030 1CC20160
	buffer_load_dwordx4 a[56:59], v37, s[24:27], 0 offen       // 00000000556C: E05C1000 80863825
	v_mfma_f32_16x16x32_fp8_fp8 v[48:51], a[98:99], a[2:3], v[48:51]// 000000005574: D3F30030 1CC20562
	v_mfma_f32_16x16x32_fp8_fp8 v[48:51], a[100:101], a[4:5], v[48:51]// 00000000557C: D3F30030 1CC20964
	v_mfma_f32_16x16x32_fp8_fp8 v[48:51], a[102:103], a[6:7], v[48:51]// 000000005584: D3F30030 1CC20D66
	v_mfma_f32_16x16x32_fp8_fp8 v[52:55], a[104:105], a[0:1], v[52:55]// 00000000558C: D3F30034 1CD20168
	buffer_load_dwordx4 a[60:63], v37, s[24:27], 0 offen offset:1024// 000000005594: E05C1400 80863C25
	v_mfma_f32_16x16x32_fp8_fp8 v[52:55], a[106:107], a[2:3], v[52:55]// 00000000559C: D3F30034 1CD2056A
	v_mfma_f32_16x16x32_fp8_fp8 v[52:55], a[108:109], a[4:5], v[52:55]// 0000000055A4: D3F30034 1CD2096C
	v_mfma_f32_16x16x32_fp8_fp8 v[52:55], a[110:111], a[6:7], v[52:55]// 0000000055AC: D3F30034 1CD20D6E
	buffer_load_dwordx4 a[64:67], v38, s[24:27], 0 offen       // 0000000055B4: E05C1000 80864026
	buffer_load_dwordx4 a[68:71], v38, s[24:27], 0 offen offset:1024// 0000000055BC: E05C1400 80864426
	buffer_load_dwordx4 a[72:75], v39, s[24:27], 0 offen       // 0000000055C4: E05C1000 80864827
	buffer_load_dwordx4 a[76:79], v39, s[24:27], 0 offen offset:1024// 0000000055CC: E05C1400 80864C27
	buffer_load_dword v34, s[20:23], 0 offen lds               // 0000000055D4: E0511000 80050022
	s_add_u32 m0, 0x100, s48                                   // 0000000055DC: 807C30FF 00000100
	buffer_load_dword v35, s[20:23], 0 offen lds               // 0000000055E4: E0511000 80050023
	s_add_u32 m0, 0, s49                                       // 0000000055EC: 807C3180
	s_waitcnt vmcnt(10)                                        // 0000000055F0: BF8C0F7A
	s_barrier                                                  // 0000000055F4: BF8A0000
	v_mfma_f32_16x16x32_fp8_fp8 v[56:59], a[16:17], a[0:1], v[56:59]// 0000000055F8: D3F30038 1CE20110
	buffer_load_dwordx4 a[80:83], v36, s[84:87], 0 offen       // 000000005600: E05C1000 80955024
	v_mfma_f32_16x16x32_fp8_fp8 v[56:59], a[18:19], a[2:3], v[56:59]// 000000005608: D3F30038 1CE20512
	v_mfma_f32_16x16x32_fp8_fp8 v[56:59], a[20:21], a[4:5], v[56:59]// 000000005610: D3F30038 1CE20914
	ds_read_b128 a[8:11], v2 offset:4352                       // 000000005618: DBFE1100 08000002
	ds_read_b128 a[12:15], v2 offset:4416                      // 000000005620: DBFE1140 0C000002
	v_mfma_f32_16x16x32_fp8_fp8 v[56:59], a[22:23], a[6:7], v[56:59]// 000000005628: D3F30038 1CE20D16
	v_mfma_f32_16x16x32_fp8_fp8 v[60:63], a[24:25], a[0:1], v[60:63]// 000000005630: D3F3003C 1CF20118
	buffer_load_dwordx4 a[84:87], v36, s[84:87], 0 offen offset:1024// 000000005638: E05C1400 80955424
	v_mfma_f32_16x16x32_fp8_fp8 v[60:63], a[26:27], a[2:3], v[60:63]// 000000005640: D3F3003C 1CF2051A
	v_mfma_f32_16x16x32_fp8_fp8 v[60:63], a[28:29], a[4:5], v[60:63]// 000000005648: D3F3003C 1CF2091C
	v_mfma_f32_16x16x32_fp8_fp8 v[60:63], a[30:31], a[6:7], v[60:63]// 000000005650: D3F3003C 1CF20D1E
	v_mfma_f32_16x16x32_fp8_fp8 v[64:67], a[32:33], a[0:1], v[64:67]// 000000005658: D3F30040 1D020120
	buffer_load_dwordx4 a[88:91], v37, s[84:87], 0 offen       // 000000005660: E05C1000 80955825
	s_add_u32 s60, 0x180, s80                                  // 000000005668: 803C50FF 00000180
	s_cmp_lt_u32 s60, s81                                      // 000000005670: BF0A513C
	s_cselect_b32 s57, s57, 0                                  // 000000005674: 85398039
	v_mfma_f32_16x16x32_fp8_fp8 v[64:67], a[34:35], a[2:3], v[64:67]// 000000005678: D3F30040 1D020522
	s_add_u32 s60, 0x100, s80                                  // 000000005680: 803C50FF 00000100
	s_cmp_lt_u32 s60, s81                                      // 000000005688: BF0A513C
	s_cselect_b32 s58, s58, 0                                  // 00000000568C: 853A803A
	v_mfma_f32_16x16x32_fp8_fp8 v[64:67], a[36:37], a[4:5], v[64:67]// 000000005690: D3F30040 1D020924
	s_add_u32 s60, 0x100, s80                                  // 000000005698: 803C50FF 00000100
	s_cmp_lt_u32 s60, s81                                      // 0000000056A0: BF0A513C
	s_cselect_b32 s83, s83, 0                                  // 0000000056A4: 85538053
	v_mfma_f32_16x16x32_fp8_fp8 v[64:67], a[38:39], a[6:7], v[64:67]// 0000000056A8: D3F30040 1D020D26
	s_add_u32 s24, s58, s24                                    // 0000000056B0: 8018183A
	s_addc_u32 s25, 0, s25                                     // 0000000056B4: 82191980
	v_mfma_f32_16x16x32_fp8_fp8 v[68:71], a[40:41], a[0:1], v[68:71]// 0000000056B8: D3F30044 1D120128
	buffer_load_dwordx4 a[92:95], v37, s[84:87], 0 offen offset:1024// 0000000056C0: E05C1400 80955C25
	s_add_u32 s20, s57, s20                                    // 0000000056C8: 80141439
	s_addc_u32 s21, 0, s21                                     // 0000000056CC: 82151580
	v_mfma_f32_16x16x32_fp8_fp8 v[68:71], a[42:43], a[2:3], v[68:71]// 0000000056D0: D3F30044 1D12052A
	v_mfma_f32_16x16x32_fp8_fp8 v[68:71], a[44:45], a[4:5], v[68:71]// 0000000056D8: D3F30044 1D12092C
	v_mfma_f32_16x16x32_fp8_fp8 v[68:71], a[46:47], a[6:7], v[68:71]// 0000000056E0: D3F30044 1D120D2E
	buffer_load_dwordx4 a[96:99], v38, s[84:87], 0 offen       // 0000000056E8: E05C1000 80956026
	buffer_load_dwordx4 a[100:103], v38, s[84:87], 0 offen offset:1024// 0000000056F0: E05C1400 80956426
	buffer_load_dwordx4 a[104:107], v39, s[84:87], 0 offen     // 0000000056F8: E05C1000 80956827
	buffer_load_dwordx4 a[108:111], v39, s[84:87], 0 offen offset:1024// 000000005700: E05C1400 80956C27
	s_add_u32 s84, s83, s84                                    // 000000005708: 80545453
	s_addc_u32 s85, 0, s85                                     // 00000000570C: 82555580
	s_addk_i32 s80, 0x80                                       // 000000005710: B7500080
	s_cmp_lt_i32 s80, s81                                      // 000000005714: BF045150
	s_cbranch_scc0 label_0BCE                                  // 000000005718: BF840084
	s_waitcnt vmcnt(10) lgkmcnt(0)                             // 00000000571C: BF8C007A
	v_mfma_f32_16x16x32_fp8_fp8 v[40:43], a[48:49], a[8:9], v[40:43]// 000000005720: D3F30028 1CA21130
	buffer_load_dwordx4 a[16:19], v36, s[24:27], 0 offen       // 000000005728: E05C1000 80861024
	v_mfma_f32_16x16x32_fp8_fp8 v[40:43], a[50:51], a[10:11], v[40:43]// 000000005730: D3F30028 1CA21532
	v_mfma_f32_16x16x32_fp8_fp8 v[40:43], a[52:53], a[12:13], v[40:43]// 000000005738: D3F30028 1CA21934
	v_mfma_f32_16x16x32_fp8_fp8 v[40:43], a[54:55], a[14:15], v[40:43]// 000000005740: D3F30028 1CA21D36
	v_mfma_f32_16x16x32_fp8_fp8 v[44:47], a[56:57], a[8:9], v[44:47]// 000000005748: D3F3002C 1CB21138
	buffer_load_dwordx4 a[20:23], v36, s[24:27], 0 offen offset:1024// 000000005750: E05C1400 80861424
	v_mfma_f32_16x16x32_fp8_fp8 v[44:47], a[58:59], a[10:11], v[44:47]// 000000005758: D3F3002C 1CB2153A
	v_mfma_f32_16x16x32_fp8_fp8 v[44:47], a[60:61], a[12:13], v[44:47]// 000000005760: D3F3002C 1CB2193C
	v_mfma_f32_16x16x32_fp8_fp8 v[44:47], a[62:63], a[14:15], v[44:47]// 000000005768: D3F3002C 1CB21D3E
	v_mfma_f32_16x16x32_fp8_fp8 v[48:51], a[64:65], a[8:9], v[48:51]// 000000005770: D3F30030 1CC21140
	buffer_load_dwordx4 a[24:27], v37, s[24:27], 0 offen       // 000000005778: E05C1000 80861825
	v_mfma_f32_16x16x32_fp8_fp8 v[48:51], a[66:67], a[10:11], v[48:51]// 000000005780: D3F30030 1CC21542
	v_mfma_f32_16x16x32_fp8_fp8 v[48:51], a[68:69], a[12:13], v[48:51]// 000000005788: D3F30030 1CC21944
	v_mfma_f32_16x16x32_fp8_fp8 v[48:51], a[70:71], a[14:15], v[48:51]// 000000005790: D3F30030 1CC21D46
	v_mfma_f32_16x16x32_fp8_fp8 v[52:55], a[72:73], a[8:9], v[52:55]// 000000005798: D3F30034 1CD21148
	buffer_load_dwordx4 a[28:31], v37, s[24:27], 0 offen offset:1024// 0000000057A0: E05C1400 80861C25
	v_mfma_f32_16x16x32_fp8_fp8 v[52:55], a[74:75], a[10:11], v[52:55]// 0000000057A8: D3F30034 1CD2154A
	v_mfma_f32_16x16x32_fp8_fp8 v[52:55], a[76:77], a[12:13], v[52:55]// 0000000057B0: D3F30034 1CD2194C
	v_mfma_f32_16x16x32_fp8_fp8 v[52:55], a[78:79], a[14:15], v[52:55]// 0000000057B8: D3F30034 1CD21D4E
	buffer_load_dwordx4 a[32:35], v38, s[24:27], 0 offen       // 0000000057C0: E05C1000 80862026
	buffer_load_dwordx4 a[36:39], v38, s[24:27], 0 offen offset:1024// 0000000057C8: E05C1400 80862426
	buffer_load_dwordx4 a[40:43], v39, s[24:27], 0 offen       // 0000000057D0: E05C1000 80862827
	buffer_load_dwordx4 a[44:47], v39, s[24:27], 0 offen offset:1024// 0000000057D8: E05C1400 80862C27
	buffer_load_dword v34, s[20:23], 0 offen lds               // 0000000057E0: E0511000 80050022
	s_add_u32 m0, 0x100, s49                                   // 0000000057E8: 807C31FF 00000100
	buffer_load_dword v35, s[20:23], 0 offen lds               // 0000000057F0: E0511000 80050023
	s_add_u32 m0, 0, s50                                       // 0000000057F8: 807C3280
	s_waitcnt vmcnt(10)                                        // 0000000057FC: BF8C0F7A
	s_barrier                                                  // 000000005800: BF8A0000
	v_mfma_f32_16x16x32_fp8_fp8 v[56:59], a[80:81], a[8:9], v[56:59]// 000000005804: D3F30038 1CE21150
	buffer_load_dwordx4 a[48:51], v36, s[84:87], 0 offen       // 00000000580C: E05C1000 80953024
	v_mfma_f32_16x16x32_fp8_fp8 v[56:59], a[82:83], a[10:11], v[56:59]// 000000005814: D3F30038 1CE21552
	v_mfma_f32_16x16x32_fp8_fp8 v[56:59], a[84:85], a[12:13], v[56:59]// 00000000581C: D3F30038 1CE21954
	ds_read_b128 a[0:3], v2                                    // 000000005824: DBFE0000 00000002
	ds_read_b128 a[4:7], v2 offset:64                          // 00000000582C: DBFE0040 04000002
	v_mfma_f32_16x16x32_fp8_fp8 v[56:59], a[86:87], a[14:15], v[56:59]// 000000005834: D3F30038 1CE21D56
	v_mfma_f32_16x16x32_fp8_fp8 v[60:63], a[88:89], a[8:9], v[60:63]// 00000000583C: D3F3003C 1CF21158
	buffer_load_dwordx4 a[52:55], v36, s[84:87], 0 offen offset:1024// 000000005844: E05C1400 80953424
	v_mfma_f32_16x16x32_fp8_fp8 v[60:63], a[90:91], a[10:11], v[60:63]// 00000000584C: D3F3003C 1CF2155A
	v_mfma_f32_16x16x32_fp8_fp8 v[60:63], a[92:93], a[12:13], v[60:63]// 000000005854: D3F3003C 1CF2195C
	v_mfma_f32_16x16x32_fp8_fp8 v[60:63], a[94:95], a[14:15], v[60:63]// 00000000585C: D3F3003C 1CF21D5E
	v_mfma_f32_16x16x32_fp8_fp8 v[64:67], a[96:97], a[8:9], v[64:67]// 000000005864: D3F30040 1D021160
	buffer_load_dwordx4 a[56:59], v37, s[84:87], 0 offen       // 00000000586C: E05C1000 80953825
	s_add_u32 s60, 0x180, s80                                  // 000000005874: 803C50FF 00000180
	s_cmp_lt_u32 s60, s81                                      // 00000000587C: BF0A513C
	s_cselect_b32 s57, s57, 0                                  // 000000005880: 85398039
	v_mfma_f32_16x16x32_fp8_fp8 v[64:67], a[98:99], a[10:11], v[64:67]// 000000005884: D3F30040 1D021562
	s_add_u32 s60, 0x100, s80                                  // 00000000588C: 803C50FF 00000100
	s_cmp_lt_u32 s60, s81                                      // 000000005894: BF0A513C
	s_cselect_b32 s58, s58, 0                                  // 000000005898: 853A803A
	v_mfma_f32_16x16x32_fp8_fp8 v[64:67], a[100:101], a[12:13], v[64:67]// 00000000589C: D3F30040 1D021964
	s_add_u32 s60, 0x100, s80                                  // 0000000058A4: 803C50FF 00000100
	s_cmp_lt_u32 s60, s81                                      // 0000000058AC: BF0A513C
	s_cselect_b32 s83, s83, 0                                  // 0000000058B0: 85538053
	v_mfma_f32_16x16x32_fp8_fp8 v[64:67], a[102:103], a[14:15], v[64:67]// 0000000058B4: D3F30040 1D021D66
	s_add_u32 s24, s58, s24                                    // 0000000058BC: 8018183A
	s_addc_u32 s25, 0, s25                                     // 0000000058C0: 82191980
	v_mfma_f32_16x16x32_fp8_fp8 v[68:71], a[104:105], a[8:9], v[68:71]// 0000000058C4: D3F30044 1D121168
	buffer_load_dwordx4 a[60:63], v37, s[84:87], 0 offen offset:1024// 0000000058CC: E05C1400 80953C25
	s_add_u32 s20, s57, s20                                    // 0000000058D4: 80141439
	s_addc_u32 s21, 0, s21                                     // 0000000058D8: 82151580
	v_mfma_f32_16x16x32_fp8_fp8 v[68:71], a[106:107], a[10:11], v[68:71]// 0000000058DC: D3F30044 1D12156A
	v_mfma_f32_16x16x32_fp8_fp8 v[68:71], a[108:109], a[12:13], v[68:71]// 0000000058E4: D3F30044 1D12196C
	v_mfma_f32_16x16x32_fp8_fp8 v[68:71], a[110:111], a[14:15], v[68:71]// 0000000058EC: D3F30044 1D121D6E
	buffer_load_dwordx4 a[64:67], v38, s[84:87], 0 offen       // 0000000058F4: E05C1000 80954026
	buffer_load_dwordx4 a[68:71], v38, s[84:87], 0 offen offset:1024// 0000000058FC: E05C1400 80954426
	buffer_load_dwordx4 a[72:75], v39, s[84:87], 0 offen       // 000000005904: E05C1000 80954827
	buffer_load_dwordx4 a[76:79], v39, s[84:87], 0 offen offset:1024// 00000000590C: E05C1400 80954C27
	s_add_u32 s84, s83, s84                                    // 000000005914: 80545453
	s_addc_u32 s85, 0, s85                                     // 000000005918: 82555580
	s_addk_i32 s80, 0x80                                       // 00000000591C: B7500080
	s_cmp_lt_i32 s80, s81                                      // 000000005920: BF045150
	s_cbranch_scc0 label_0BCE                                  // 000000005924: BF840001
	s_branch label_08BB                                        // 000000005928: BF82FCED

000000000000592c <label_0BCE>:
	v_mul_f32_dpp v40, v24, v40 row_newbcast:0 row_mask:0xf bank_mask:0xf// 00000000592C: 0A5050FA FF015018
	v_mul_f32_dpp v41, v24, v41 row_newbcast:1 row_mask:0xf bank_mask:0xf// 000000005934: 0A5252FA FF015118
	v_mul_f32_dpp v42, v24, v42 row_newbcast:2 row_mask:0xf bank_mask:0xf// 00000000593C: 0A5454FA FF015218
	v_mul_f32_dpp v43, v24, v43 row_newbcast:3 row_mask:0xf bank_mask:0xf// 000000005944: 0A5656FA FF015318
	v_mul_f32_dpp v44, v24, v44 row_newbcast:4 row_mask:0xf bank_mask:0xf// 00000000594C: 0A5858FA FF015418
	v_mul_f32_dpp v45, v24, v45 row_newbcast:5 row_mask:0xf bank_mask:0xf// 000000005954: 0A5A5AFA FF015518
	v_mul_f32_dpp v46, v24, v46 row_newbcast:6 row_mask:0xf bank_mask:0xf// 00000000595C: 0A5C5CFA FF015618
	v_mul_f32_dpp v47, v24, v47 row_newbcast:7 row_mask:0xf bank_mask:0xf// 000000005964: 0A5E5EFA FF015718
	v_mul_f32_dpp v48, v24, v48 row_newbcast:8 row_mask:0xf bank_mask:0xf// 00000000596C: 0A6060FA FF015818
	v_mul_f32_dpp v49, v24, v49 row_newbcast:9 row_mask:0xf bank_mask:0xf// 000000005974: 0A6262FA FF015918
	v_mul_f32_dpp v50, v24, v50 row_newbcast:10 row_mask:0xf bank_mask:0xf// 00000000597C: 0A6464FA FF015A18
	v_mul_f32_dpp v51, v24, v51 row_newbcast:11 row_mask:0xf bank_mask:0xf// 000000005984: 0A6666FA FF015B18
	v_mul_f32_dpp v52, v24, v52 row_newbcast:12 row_mask:0xf bank_mask:0xf// 00000000598C: 0A6868FA FF015C18
	v_mul_f32_dpp v53, v24, v53 row_newbcast:13 row_mask:0xf bank_mask:0xf// 000000005994: 0A6A6AFA FF015D18
	v_mul_f32_dpp v54, v24, v54 row_newbcast:14 row_mask:0xf bank_mask:0xf// 00000000599C: 0A6C6CFA FF015E18
	v_mul_f32_dpp v55, v24, v55 row_newbcast:15 row_mask:0xf bank_mask:0xf// 0000000059A4: 0A6E6EFA FF015F18
	v_mul_f32_dpp v56, v27, v56 row_newbcast:0 row_mask:0xf bank_mask:0xf// 0000000059AC: 0A7070FA FF01501B
	v_mul_f32_dpp v57, v27, v57 row_newbcast:1 row_mask:0xf bank_mask:0xf// 0000000059B4: 0A7272FA FF01511B
	v_mul_f32_dpp v58, v27, v58 row_newbcast:2 row_mask:0xf bank_mask:0xf// 0000000059BC: 0A7474FA FF01521B
	v_mul_f32_dpp v59, v27, v59 row_newbcast:3 row_mask:0xf bank_mask:0xf// 0000000059C4: 0A7676FA FF01531B
	v_mul_f32_dpp v60, v27, v60 row_newbcast:4 row_mask:0xf bank_mask:0xf// 0000000059CC: 0A7878FA FF01541B
	v_mul_f32_dpp v61, v27, v61 row_newbcast:5 row_mask:0xf bank_mask:0xf// 0000000059D4: 0A7A7AFA FF01551B
	v_mul_f32_dpp v62, v27, v62 row_newbcast:6 row_mask:0xf bank_mask:0xf// 0000000059DC: 0A7C7CFA FF01561B
	v_mul_f32_dpp v63, v27, v63 row_newbcast:7 row_mask:0xf bank_mask:0xf// 0000000059E4: 0A7E7EFA FF01571B
	v_mul_f32_dpp v64, v27, v64 row_newbcast:8 row_mask:0xf bank_mask:0xf// 0000000059EC: 0A8080FA FF01581B
	v_mul_f32_dpp v65, v27, v65 row_newbcast:9 row_mask:0xf bank_mask:0xf// 0000000059F4: 0A8282FA FF01591B
	v_mul_f32_dpp v66, v27, v66 row_newbcast:10 row_mask:0xf bank_mask:0xf// 0000000059FC: 0A8484FA FF015A1B
	v_mul_f32_dpp v67, v27, v67 row_newbcast:11 row_mask:0xf bank_mask:0xf// 000000005A04: 0A8686FA FF015B1B
	v_mul_f32_dpp v68, v27, v68 row_newbcast:12 row_mask:0xf bank_mask:0xf// 000000005A0C: 0A8888FA FF015C1B
	v_mul_f32_dpp v69, v27, v69 row_newbcast:13 row_mask:0xf bank_mask:0xf// 000000005A14: 0A8A8AFA FF015D1B
	v_mul_f32_dpp v70, v27, v70 row_newbcast:14 row_mask:0xf bank_mask:0xf// 000000005A1C: 0A8C8CFA FF015E1B
	v_mul_f32_dpp v71, v27, v71 row_newbcast:15 row_mask:0xf bank_mask:0xf// 000000005A24: 0A8E8EFA FF015F1B
	v_mov_b32_e32 v4, v31                                      // 000000005A2C: 7E08031F
	v_mov_b32_e32 v5, v4                                       // 000000005A30: 7E0A0304
	v_pk_mul_f32 v[40:41], v[4:5], v[40:41]                    // 000000005A34: D3B14028 18025104
	v_pk_mul_f32 v[56:57], v[4:5], v[56:57]                    // 000000005A3C: D3B14038 18027104
	v_pk_mul_f32 v[42:43], v[4:5], v[42:43]                    // 000000005A44: D3B1402A 18025504
	v_pk_mul_f32 v[58:59], v[4:5], v[58:59]                    // 000000005A4C: D3B1403A 18027504
	v_pk_mul_f32 v[44:45], v[4:5], v[44:45]                    // 000000005A54: D3B1402C 18025904
	v_pk_mul_f32 v[60:61], v[4:5], v[60:61]                    // 000000005A5C: D3B1403C 18027904
	v_pk_mul_f32 v[46:47], v[4:5], v[46:47]                    // 000000005A64: D3B1402E 18025D04
	v_pk_mul_f32 v[62:63], v[4:5], v[62:63]                    // 000000005A6C: D3B1403E 18027D04
	v_pk_mul_f32 v[48:49], v[4:5], v[48:49]                    // 000000005A74: D3B14030 18026104
	v_pk_mul_f32 v[64:65], v[4:5], v[64:65]                    // 000000005A7C: D3B14040 18028104
	v_pk_mul_f32 v[50:51], v[4:5], v[50:51]                    // 000000005A84: D3B14032 18026504
	v_pk_mul_f32 v[66:67], v[4:5], v[66:67]                    // 000000005A8C: D3B14042 18028504
	v_pk_mul_f32 v[52:53], v[4:5], v[52:53]                    // 000000005A94: D3B14034 18026904
	v_pk_mul_f32 v[68:69], v[4:5], v[68:69]                    // 000000005A9C: D3B14044 18028904
	v_pk_mul_f32 v[54:55], v[4:5], v[54:55]                    // 000000005AA4: D3B14036 18026D04
	v_pk_mul_f32 v[70:71], v[4:5], v[70:71]                    // 000000005AAC: D3B14046 18028D04
	s_cmp_eq_u32 s88, 0                                        // 000000005AB4: BF068058
	s_cbranch_scc0 label_0E57                                  // 000000005AB8: BF840225
	s_cmp_eq_u32 s89, 0                                        // 000000005ABC: BF068059
	s_cbranch_scc1 label_0CD9                                  // 000000005AC0: BF8500A5
	v_mov_b32_e32 v8, v1                                       // 000000005AC4: 7E100301
	v_mov_b32_e32 v9, v1                                       // 000000005AC8: 7E120301
	s_mov_b32 s60, s6                                          // 000000005ACC: BEBC0006
	s_mov_b32 s61, s6                                          // 000000005AD0: BEBD0006
	v_pk_mul_f32 v[4:5], v[40:41], v[40:41]                    // 000000005AD4: D3B14004 18025128
	v_pk_mul_f32 v[6:7], v[42:43], v[42:43]                    // 000000005ADC: D3B14006 1802552A
	v_pk_fma_f32 v[4:5], v[4:5], s[78:79], v[8:9]              // 000000005AE4: D3B04004 1C209D04
	v_pk_fma_f32 v[6:7], v[6:7], s[78:79], v[8:9]              // 000000005AEC: D3B04006 1C209D06
	v_pk_mul_f32 v[4:5], v[4:5], v[40:41]                      // 000000005AF4: D3B14004 18025104
	v_pk_mul_f32 v[6:7], v[6:7], v[42:43]                      // 000000005AFC: D3B14006 18025506
	v_pk_mul_f32 v[4:5], v[4:5], s[60:61]                      // 000000005B04: D3B14004 18007904
	v_pk_mul_f32 v[6:7], v[6:7], s[60:61]                      // 000000005B0C: D3B14006 18007906
	v_exp_f32_e32 v4, v4                                       // 000000005B14: 7E084104
	v_exp_f32_e32 v5, v5                                       // 000000005B18: 7E0A4105
	v_exp_f32_e32 v6, v6                                       // 000000005B1C: 7E0C4106
	v_exp_f32_e32 v7, v7                                       // 000000005B20: 7E0E4107
	v_add_f32_e64 v4, v4, 1.0                                  // 000000005B24: D1010004 0001E504
	v_add_f32_e64 v5, v5, 1.0                                  // 000000005B2C: D1010005 0001E505
	v_add_f32_e64 v6, v6, 1.0                                  // 000000005B34: D1010006 0001E506
	v_add_f32_e64 v7, v7, 1.0                                  // 000000005B3C: D1010007 0001E507
	v_rcp_f32_e32 v4, v4                                       // 000000005B44: 7E084504
	v_rcp_f32_e32 v5, v5                                       // 000000005B48: 7E0A4505
	v_rcp_f32_e32 v6, v6                                       // 000000005B4C: 7E0C4506
	v_rcp_f32_e32 v7, v7                                       // 000000005B50: 7E0E4507
	v_mul_f32_e32 v40, v40, v4                                 // 000000005B54: 0A500928
	v_mul_f32_e32 v41, v41, v5                                 // 000000005B58: 0A520B29
	v_mul_f32_e32 v42, v42, v6                                 // 000000005B5C: 0A540D2A
	v_mul_f32_e32 v43, v43, v7                                 // 000000005B60: 0A560F2B
	v_mul_f32_e32 v40, v40, v56                                // 000000005B64: 0A507128
	v_mul_f32_e32 v41, v41, v57                                // 000000005B68: 0A527329
	v_mul_f32_e32 v42, v42, v58                                // 000000005B6C: 0A54752A
	v_mul_f32_e32 v43, v43, v59                                // 000000005B70: 0A56772B
	v_pk_mul_f32 v[4:5], v[44:45], v[44:45]                    // 000000005B74: D3B14004 1802592C
	v_pk_mul_f32 v[6:7], v[46:47], v[46:47]                    // 000000005B7C: D3B14006 18025D2E
	v_pk_fma_f32 v[4:5], v[4:5], s[78:79], v[8:9]              // 000000005B84: D3B04004 1C209D04
	v_pk_fma_f32 v[6:7], v[6:7], s[78:79], v[8:9]              // 000000005B8C: D3B04006 1C209D06
	v_pk_mul_f32 v[4:5], v[4:5], v[44:45]                      // 000000005B94: D3B14004 18025904
	v_pk_mul_f32 v[6:7], v[6:7], v[46:47]                      // 000000005B9C: D3B14006 18025D06
	v_pk_mul_f32 v[4:5], v[4:5], s[60:61]                      // 000000005BA4: D3B14004 18007904
	v_pk_mul_f32 v[6:7], v[6:7], s[60:61]                      // 000000005BAC: D3B14006 18007906
	v_exp_f32_e32 v4, v4                                       // 000000005BB4: 7E084104
	v_exp_f32_e32 v5, v5                                       // 000000005BB8: 7E0A4105
	v_exp_f32_e32 v6, v6                                       // 000000005BBC: 7E0C4106
	v_exp_f32_e32 v7, v7                                       // 000000005BC0: 7E0E4107
	v_add_f32_e64 v4, v4, 1.0                                  // 000000005BC4: D1010004 0001E504
	v_add_f32_e64 v5, v5, 1.0                                  // 000000005BCC: D1010005 0001E505
	v_add_f32_e64 v6, v6, 1.0                                  // 000000005BD4: D1010006 0001E506
	v_add_f32_e64 v7, v7, 1.0                                  // 000000005BDC: D1010007 0001E507
	v_rcp_f32_e32 v4, v4                                       // 000000005BE4: 7E084504
	v_rcp_f32_e32 v5, v5                                       // 000000005BE8: 7E0A4505
	v_rcp_f32_e32 v6, v6                                       // 000000005BEC: 7E0C4506
	v_rcp_f32_e32 v7, v7                                       // 000000005BF0: 7E0E4507
	v_mul_f32_e32 v44, v44, v4                                 // 000000005BF4: 0A58092C
	v_mul_f32_e32 v45, v45, v5                                 // 000000005BF8: 0A5A0B2D
	v_mul_f32_e32 v46, v46, v6                                 // 000000005BFC: 0A5C0D2E
	v_mul_f32_e32 v47, v47, v7                                 // 000000005C00: 0A5E0F2F
	v_mul_f32_e32 v44, v44, v60                                // 000000005C04: 0A58792C
	v_mul_f32_e32 v45, v45, v61                                // 000000005C08: 0A5A7B2D
	v_mul_f32_e32 v46, v46, v62                                // 000000005C0C: 0A5C7D2E
	v_mul_f32_e32 v47, v47, v63                                // 000000005C10: 0A5E7F2F
	v_pk_mul_f32 v[4:5], v[48:49], v[48:49]                    // 000000005C14: D3B14004 18026130
	v_pk_mul_f32 v[6:7], v[50:51], v[50:51]                    // 000000005C1C: D3B14006 18026532
	v_pk_fma_f32 v[4:5], v[4:5], s[78:79], v[8:9]              // 000000005C24: D3B04004 1C209D04
	v_pk_fma_f32 v[6:7], v[6:7], s[78:79], v[8:9]              // 000000005C2C: D3B04006 1C209D06
	v_pk_mul_f32 v[4:5], v[4:5], v[48:49]                      // 000000005C34: D3B14004 18026104
	v_pk_mul_f32 v[6:7], v[6:7], v[50:51]                      // 000000005C3C: D3B14006 18026506
	v_pk_mul_f32 v[4:5], v[4:5], s[60:61]                      // 000000005C44: D3B14004 18007904
	v_pk_mul_f32 v[6:7], v[6:7], s[60:61]                      // 000000005C4C: D3B14006 18007906
	v_exp_f32_e32 v4, v4                                       // 000000005C54: 7E084104
	v_exp_f32_e32 v5, v5                                       // 000000005C58: 7E0A4105
	v_exp_f32_e32 v6, v6                                       // 000000005C5C: 7E0C4106
	v_exp_f32_e32 v7, v7                                       // 000000005C60: 7E0E4107
	v_add_f32_e64 v4, v4, 1.0                                  // 000000005C64: D1010004 0001E504
	v_add_f32_e64 v5, v5, 1.0                                  // 000000005C6C: D1010005 0001E505
	v_add_f32_e64 v6, v6, 1.0                                  // 000000005C74: D1010006 0001E506
	v_add_f32_e64 v7, v7, 1.0                                  // 000000005C7C: D1010007 0001E507
	v_rcp_f32_e32 v4, v4                                       // 000000005C84: 7E084504
	v_rcp_f32_e32 v5, v5                                       // 000000005C88: 7E0A4505
	v_rcp_f32_e32 v6, v6                                       // 000000005C8C: 7E0C4506
	v_rcp_f32_e32 v7, v7                                       // 000000005C90: 7E0E4507
	v_mul_f32_e32 v48, v48, v4                                 // 000000005C94: 0A600930
	v_mul_f32_e32 v49, v49, v5                                 // 000000005C98: 0A620B31
	v_mul_f32_e32 v50, v50, v6                                 // 000000005C9C: 0A640D32
	v_mul_f32_e32 v51, v51, v7                                 // 000000005CA0: 0A660F33
	v_mul_f32_e32 v48, v48, v64                                // 000000005CA4: 0A608130
	v_mul_f32_e32 v49, v49, v65                                // 000000005CA8: 0A628331
	v_mul_f32_e32 v50, v50, v66                                // 000000005CAC: 0A648532
	v_mul_f32_e32 v51, v51, v67                                // 000000005CB0: 0A668733
	v_pk_mul_f32 v[4:5], v[52:53], v[52:53]                    // 000000005CB4: D3B14004 18026934
	v_pk_mul_f32 v[6:7], v[54:55], v[54:55]                    // 000000005CBC: D3B14006 18026D36
	v_pk_fma_f32 v[4:5], v[4:5], s[78:79], v[8:9]              // 000000005CC4: D3B04004 1C209D04
	v_pk_fma_f32 v[6:7], v[6:7], s[78:79], v[8:9]              // 000000005CCC: D3B04006 1C209D06
	v_pk_mul_f32 v[4:5], v[4:5], v[52:53]                      // 000000005CD4: D3B14004 18026904
	v_pk_mul_f32 v[6:7], v[6:7], v[54:55]                      // 000000005CDC: D3B14006 18026D06
	v_pk_mul_f32 v[4:5], v[4:5], s[60:61]                      // 000000005CE4: D3B14004 18007904
	v_pk_mul_f32 v[6:7], v[6:7], s[60:61]                      // 000000005CEC: D3B14006 18007906
	v_exp_f32_e32 v4, v4                                       // 000000005CF4: 7E084104
	v_exp_f32_e32 v5, v5                                       // 000000005CF8: 7E0A4105
	v_exp_f32_e32 v6, v6                                       // 000000005CFC: 7E0C4106
	v_exp_f32_e32 v7, v7                                       // 000000005D00: 7E0E4107
	v_add_f32_e64 v4, v4, 1.0                                  // 000000005D04: D1010004 0001E504
	v_add_f32_e64 v5, v5, 1.0                                  // 000000005D0C: D1010005 0001E505
	v_add_f32_e64 v6, v6, 1.0                                  // 000000005D14: D1010006 0001E506
	v_add_f32_e64 v7, v7, 1.0                                  // 000000005D1C: D1010007 0001E507
	v_rcp_f32_e32 v4, v4                                       // 000000005D24: 7E084504
	v_rcp_f32_e32 v5, v5                                       // 000000005D28: 7E0A4505
	v_rcp_f32_e32 v6, v6                                       // 000000005D2C: 7E0C4506
	v_rcp_f32_e32 v7, v7                                       // 000000005D30: 7E0E4507
	v_mul_f32_e32 v52, v52, v4                                 // 000000005D34: 0A680934
	v_mul_f32_e32 v53, v53, v5                                 // 000000005D38: 0A6A0B35
	v_mul_f32_e32 v54, v54, v6                                 // 000000005D3C: 0A6C0D36
	v_mul_f32_e32 v55, v55, v7                                 // 000000005D40: 0A6E0F37
	v_mul_f32_e32 v52, v52, v68                                // 000000005D44: 0A688934
	v_mul_f32_e32 v53, v53, v69                                // 000000005D48: 0A6A8B35
	v_mul_f32_e32 v54, v54, v70                                // 000000005D4C: 0A6C8D36
	v_mul_f32_e32 v55, v55, v71                                // 000000005D50: 0A6E8F37
	s_branch label_0D59                                        // 000000005D54: BF820080

0000000000005d58 <label_0CD9>:
	v_mul_f32_e64 v4, -v40, s6                                 // 000000005D58: D1050004 20000D28
	v_mul_f32_e64 v5, -v41, s6                                 // 000000005D60: D1050005 20000D29
	v_mul_f32_e64 v6, -v42, s6                                 // 000000005D68: D1050006 20000D2A
	v_mul_f32_e64 v7, -v43, s6                                 // 000000005D70: D1050007 20000D2B
	v_exp_f32_e32 v4, v4                                       // 000000005D78: 7E084104
	v_exp_f32_e32 v5, v5                                       // 000000005D7C: 7E0A4105
	v_exp_f32_e32 v6, v6                                       // 000000005D80: 7E0C4106
	v_exp_f32_e32 v7, v7                                       // 000000005D84: 7E0E4107
	v_add_f32_e64 v4, v4, 1.0                                  // 000000005D88: D1010004 0001E504
	v_add_f32_e64 v5, v5, 1.0                                  // 000000005D90: D1010005 0001E505
	v_add_f32_e64 v6, v6, 1.0                                  // 000000005D98: D1010006 0001E506
	v_add_f32_e64 v7, v7, 1.0                                  // 000000005DA0: D1010007 0001E507
	v_rcp_f32_e32 v4, v4                                       // 000000005DA8: 7E084504
	v_rcp_f32_e32 v5, v5                                       // 000000005DAC: 7E0A4505
	v_rcp_f32_e32 v6, v6                                       // 000000005DB0: 7E0C4506
	v_rcp_f32_e32 v7, v7                                       // 000000005DB4: 7E0E4507
	v_mul_f32_e32 v40, v40, v4                                 // 000000005DB8: 0A500928
	v_mul_f32_e32 v41, v41, v5                                 // 000000005DBC: 0A520B29
	v_mul_f32_e32 v42, v42, v6                                 // 000000005DC0: 0A540D2A
	v_mul_f32_e32 v43, v43, v7                                 // 000000005DC4: 0A560F2B
	v_mul_f32_e32 v40, v40, v56                                // 000000005DC8: 0A507128
	v_mul_f32_e32 v41, v41, v57                                // 000000005DCC: 0A527329
	v_mul_f32_e32 v42, v42, v58                                // 000000005DD0: 0A54752A
	v_mul_f32_e32 v43, v43, v59                                // 000000005DD4: 0A56772B
	v_mul_f32_e64 v4, -v44, s6                                 // 000000005DD8: D1050004 20000D2C
	v_mul_f32_e64 v5, -v45, s6                                 // 000000005DE0: D1050005 20000D2D
	v_mul_f32_e64 v6, -v46, s6                                 // 000000005DE8: D1050006 20000D2E
	v_mul_f32_e64 v7, -v47, s6                                 // 000000005DF0: D1050007 20000D2F
	v_exp_f32_e32 v4, v4                                       // 000000005DF8: 7E084104
	v_exp_f32_e32 v5, v5                                       // 000000005DFC: 7E0A4105
	v_exp_f32_e32 v6, v6                                       // 000000005E00: 7E0C4106
	v_exp_f32_e32 v7, v7                                       // 000000005E04: 7E0E4107
	v_add_f32_e64 v4, v4, 1.0                                  // 000000005E08: D1010004 0001E504
	v_add_f32_e64 v5, v5, 1.0                                  // 000000005E10: D1010005 0001E505
	v_add_f32_e64 v6, v6, 1.0                                  // 000000005E18: D1010006 0001E506
	v_add_f32_e64 v7, v7, 1.0                                  // 000000005E20: D1010007 0001E507
	v_rcp_f32_e32 v4, v4                                       // 000000005E28: 7E084504
	v_rcp_f32_e32 v5, v5                                       // 000000005E2C: 7E0A4505
	v_rcp_f32_e32 v6, v6                                       // 000000005E30: 7E0C4506
	v_rcp_f32_e32 v7, v7                                       // 000000005E34: 7E0E4507
	v_mul_f32_e32 v44, v44, v4                                 // 000000005E38: 0A58092C
	v_mul_f32_e32 v45, v45, v5                                 // 000000005E3C: 0A5A0B2D
	v_mul_f32_e32 v46, v46, v6                                 // 000000005E40: 0A5C0D2E
	v_mul_f32_e32 v47, v47, v7                                 // 000000005E44: 0A5E0F2F
	v_mul_f32_e32 v44, v44, v60                                // 000000005E48: 0A58792C
	v_mul_f32_e32 v45, v45, v61                                // 000000005E4C: 0A5A7B2D
	v_mul_f32_e32 v46, v46, v62                                // 000000005E50: 0A5C7D2E
	v_mul_f32_e32 v47, v47, v63                                // 000000005E54: 0A5E7F2F
	v_mul_f32_e64 v4, -v48, s6                                 // 000000005E58: D1050004 20000D30
	v_mul_f32_e64 v5, -v49, s6                                 // 000000005E60: D1050005 20000D31
	v_mul_f32_e64 v6, -v50, s6                                 // 000000005E68: D1050006 20000D32
	v_mul_f32_e64 v7, -v51, s6                                 // 000000005E70: D1050007 20000D33
	v_exp_f32_e32 v4, v4                                       // 000000005E78: 7E084104
	v_exp_f32_e32 v5, v5                                       // 000000005E7C: 7E0A4105
	v_exp_f32_e32 v6, v6                                       // 000000005E80: 7E0C4106
	v_exp_f32_e32 v7, v7                                       // 000000005E84: 7E0E4107
	v_add_f32_e64 v4, v4, 1.0                                  // 000000005E88: D1010004 0001E504
	v_add_f32_e64 v5, v5, 1.0                                  // 000000005E90: D1010005 0001E505
	v_add_f32_e64 v6, v6, 1.0                                  // 000000005E98: D1010006 0001E506
	v_add_f32_e64 v7, v7, 1.0                                  // 000000005EA0: D1010007 0001E507
	v_rcp_f32_e32 v4, v4                                       // 000000005EA8: 7E084504
	v_rcp_f32_e32 v5, v5                                       // 000000005EAC: 7E0A4505
	v_rcp_f32_e32 v6, v6                                       // 000000005EB0: 7E0C4506
	v_rcp_f32_e32 v7, v7                                       // 000000005EB4: 7E0E4507
	v_mul_f32_e32 v48, v48, v4                                 // 000000005EB8: 0A600930
	v_mul_f32_e32 v49, v49, v5                                 // 000000005EBC: 0A620B31
	v_mul_f32_e32 v50, v50, v6                                 // 000000005EC0: 0A640D32
	v_mul_f32_e32 v51, v51, v7                                 // 000000005EC4: 0A660F33
	v_mul_f32_e32 v48, v48, v64                                // 000000005EC8: 0A608130
	v_mul_f32_e32 v49, v49, v65                                // 000000005ECC: 0A628331
	v_mul_f32_e32 v50, v50, v66                                // 000000005ED0: 0A648532
	v_mul_f32_e32 v51, v51, v67                                // 000000005ED4: 0A668733
	v_mul_f32_e64 v4, -v52, s6                                 // 000000005ED8: D1050004 20000D34
	v_mul_f32_e64 v5, -v53, s6                                 // 000000005EE0: D1050005 20000D35
	v_mul_f32_e64 v6, -v54, s6                                 // 000000005EE8: D1050006 20000D36
	v_mul_f32_e64 v7, -v55, s6                                 // 000000005EF0: D1050007 20000D37
	v_exp_f32_e32 v4, v4                                       // 000000005EF8: 7E084104
	v_exp_f32_e32 v5, v5                                       // 000000005EFC: 7E0A4105
	v_exp_f32_e32 v6, v6                                       // 000000005F00: 7E0C4106
	v_exp_f32_e32 v7, v7                                       // 000000005F04: 7E0E4107
	v_add_f32_e64 v4, v4, 1.0                                  // 000000005F08: D1010004 0001E504
	v_add_f32_e64 v5, v5, 1.0                                  // 000000005F10: D1010005 0001E505
	v_add_f32_e64 v6, v6, 1.0                                  // 000000005F18: D1010006 0001E506
	v_add_f32_e64 v7, v7, 1.0                                  // 000000005F20: D1010007 0001E507
	v_rcp_f32_e32 v4, v4                                       // 000000005F28: 7E084504
	v_rcp_f32_e32 v5, v5                                       // 000000005F2C: 7E0A4505
	v_rcp_f32_e32 v6, v6                                       // 000000005F30: 7E0C4506
	v_rcp_f32_e32 v7, v7                                       // 000000005F34: 7E0E4507
	v_mul_f32_e32 v52, v52, v4                                 // 000000005F38: 0A680934
	v_mul_f32_e32 v53, v53, v5                                 // 000000005F3C: 0A6A0B35
	v_mul_f32_e32 v54, v54, v6                                 // 000000005F40: 0A6C0D36
	v_mul_f32_e32 v55, v55, v7                                 // 000000005F44: 0A6E0F37
	v_mul_f32_e32 v52, v52, v68                                // 000000005F48: 0A688934
	v_mul_f32_e32 v53, v53, v69                                // 000000005F4C: 0A6A8B35
	v_mul_f32_e32 v54, v54, v70                                // 000000005F50: 0A6C8D36
	v_mul_f32_e32 v55, v55, v71                                // 000000005F54: 0A6E8F37

0000000000005f58 <label_0D59>:
	v_cmp_u_f32_e64 s[46:47], v40, v40                         // 000000005F58: D048002E 00025128
	v_add3_u32 v16, v40, v19, 1                                // 000000005F60: D1FF0010 02062728
	v_cndmask_b32_e64 v4, v16, v18, s[46:47]                   // 000000005F68: D1000004 00BA2510
	v_cmp_u_f32_e64 s[46:47], v41, v41                         // 000000005F70: D048002E 00025329
	v_add3_u32 v16, v41, v19, 1                                // 000000005F78: D1FF0010 02062729
	v_cndmask_b32_e64 v5, v16, v18, s[46:47]                   // 000000005F80: D1000005 00BA2510
	v_perm_b32 v40, v5, v4, s52                                // 000000005F88: D1ED0028 00D20905
	v_cmp_u_f32_e64 s[46:47], v42, v42                         // 000000005F90: D048002E 0002552A
	v_add3_u32 v16, v42, v19, 1                                // 000000005F98: D1FF0010 0206272A
	v_cndmask_b32_e64 v4, v16, v18, s[46:47]                   // 000000005FA0: D1000004 00BA2510
	v_cmp_u_f32_e64 s[46:47], v43, v43                         // 000000005FA8: D048002E 0002572B
	v_add3_u32 v16, v43, v19, 1                                // 000000005FB0: D1FF0010 0206272B
	v_cndmask_b32_e64 v5, v16, v18, s[46:47]                   // 000000005FB8: D1000005 00BA2510
	v_perm_b32 v41, v5, v4, s52                                // 000000005FC0: D1ED0029 00D20905
	v_cmp_u_f32_e64 s[46:47], v44, v44                         // 000000005FC8: D048002E 0002592C
	v_add3_u32 v16, v44, v19, 1                                // 000000005FD0: D1FF0010 0206272C
	v_cndmask_b32_e64 v4, v16, v18, s[46:47]                   // 000000005FD8: D1000004 00BA2510
	v_cmp_u_f32_e64 s[46:47], v45, v45                         // 000000005FE0: D048002E 00025B2D
	v_add3_u32 v16, v45, v19, 1                                // 000000005FE8: D1FF0010 0206272D
	v_cndmask_b32_e64 v5, v16, v18, s[46:47]                   // 000000005FF0: D1000005 00BA2510
	v_perm_b32 v42, v5, v4, s52                                // 000000005FF8: D1ED002A 00D20905
	v_cmp_u_f32_e64 s[46:47], v46, v46                         // 000000006000: D048002E 00025D2E
	v_add3_u32 v16, v46, v19, 1                                // 000000006008: D1FF0010 0206272E
	v_cndmask_b32_e64 v4, v16, v18, s[46:47]                   // 000000006010: D1000004 00BA2510
	v_cmp_u_f32_e64 s[46:47], v47, v47                         // 000000006018: D048002E 00025F2F
	v_add3_u32 v16, v47, v19, 1                                // 000000006020: D1FF0010 0206272F
	v_cndmask_b32_e64 v5, v16, v18, s[46:47]                   // 000000006028: D1000005 00BA2510
	v_perm_b32 v43, v5, v4, s52                                // 000000006030: D1ED002B 00D20905
	v_cmp_u_f32_e64 s[46:47], v48, v48                         // 000000006038: D048002E 00026130
	v_add3_u32 v16, v48, v19, 1                                // 000000006040: D1FF0010 02062730
	v_cndmask_b32_e64 v4, v16, v18, s[46:47]                   // 000000006048: D1000004 00BA2510
	v_cmp_u_f32_e64 s[46:47], v49, v49                         // 000000006050: D048002E 00026331
	v_add3_u32 v16, v49, v19, 1                                // 000000006058: D1FF0010 02062731
	v_cndmask_b32_e64 v5, v16, v18, s[46:47]                   // 000000006060: D1000005 00BA2510
	v_perm_b32 v44, v5, v4, s52                                // 000000006068: D1ED002C 00D20905
	v_cmp_u_f32_e64 s[46:47], v50, v50                         // 000000006070: D048002E 00026532
	v_add3_u32 v16, v50, v19, 1                                // 000000006078: D1FF0010 02062732
	v_cndmask_b32_e64 v4, v16, v18, s[46:47]                   // 000000006080: D1000004 00BA2510
	v_cmp_u_f32_e64 s[46:47], v51, v51                         // 000000006088: D048002E 00026733
	v_add3_u32 v16, v51, v19, 1                                // 000000006090: D1FF0010 02062733
	v_cndmask_b32_e64 v5, v16, v18, s[46:47]                   // 000000006098: D1000005 00BA2510
	v_perm_b32 v45, v5, v4, s52                                // 0000000060A0: D1ED002D 00D20905
	v_cmp_u_f32_e64 s[46:47], v52, v52                         // 0000000060A8: D048002E 00026934
	v_add3_u32 v16, v52, v19, 1                                // 0000000060B0: D1FF0010 02062734
	v_cndmask_b32_e64 v4, v16, v18, s[46:47]                   // 0000000060B8: D1000004 00BA2510
	v_cmp_u_f32_e64 s[46:47], v53, v53                         // 0000000060C0: D048002E 00026B35
	v_add3_u32 v16, v53, v19, 1                                // 0000000060C8: D1FF0010 02062735
	v_cndmask_b32_e64 v5, v16, v18, s[46:47]                   // 0000000060D0: D1000005 00BA2510
	v_perm_b32 v46, v5, v4, s52                                // 0000000060D8: D1ED002E 00D20905
	v_cmp_u_f32_e64 s[46:47], v54, v54                         // 0000000060E0: D048002E 00026D36
	v_add3_u32 v16, v54, v19, 1                                // 0000000060E8: D1FF0010 02062736
	v_cndmask_b32_e64 v4, v16, v18, s[46:47]                   // 0000000060F0: D1000004 00BA2510
	v_cmp_u_f32_e64 s[46:47], v55, v55                         // 0000000060F8: D048002E 00026F37
	v_add3_u32 v16, v55, v19, 1                                // 000000006100: D1FF0010 02062737
	v_cndmask_b32_e64 v5, v16, v18, s[46:47]                   // 000000006108: D1000005 00BA2510
	v_perm_b32 v47, v5, v4, s52                                // 000000006110: D1ED002F 00D20905
	ds_write_b64 v20, v[40:41]                                 // 000000006118: D89A0000 00002814
	ds_write_b64 v20, v[42:43] offset:2176                     // 000000006120: D89A0880 00002A14
	ds_write_b64 v20, v[44:45] offset:4352                     // 000000006128: D89A1100 00002C14
	ds_write_b64 v20, v[46:47] offset:6528                     // 000000006130: D89A1980 00002E14
	v_lshrrev_b32_e32 v4, 5, v0                                // 000000006138: 20080085
	v_xor_b32_e32 v5, 1, v4                                    // 00000000613C: 2A0A0881
	s_mul_i32 s60, s65, 2                                      // 000000006140: 923C8241
	s_cmp_eq_u32 s88, 0                                        // 000000006144: BF068058
	s_cselect_b32 s61, 1, 4                                    // 000000006148: 853D8481
	s_mul_i32 s60, s61, s60                                    // 00000000614C: 923C3C3D
	v_readlane_b32 s82, v3, 0                                  // 000000006150: D2890052 00010103
	s_lshr_b32 s61, s82, 24                                    // 000000006158: 8F3D9852
	s_and_b32 s82, s82, 0xffffff                               // 00000000615C: 8652FF52 00FFFFFF
	s_mul_i32 s82, s82, s71                                    // 000000006164: 92524752
	s_mul_i32 s61, s60, s61                                    // 000000006168: 923D3D3C
	s_add_u32 s82, s82, s61                                    // 00000000616C: 80523D52
	v_mul_lo_u32 v6, v5, s82                                   // 000000006170: D2850006 0000A505
	v_readlane_b32 s82, v3, 1                                  // 000000006178: D2890052 00010303
	s_lshr_b32 s61, s82, 24                                    // 000000006180: 8F3D9852
	s_and_b32 s82, s82, 0xffffff                               // 000000006184: 8652FF52 00FFFFFF
	s_mul_i32 s82, s82, s71                                    // 00000000618C: 92524752
	s_mul_i32 s61, s60, s61                                    // 000000006190: 923D3D3C
	s_add_u32 s82, s82, s61                                    // 000000006194: 80523D52
	v_mul_lo_u32 v7, v4, s82                                   // 000000006198: D2850007 0000A504
	v_add_u32_e32 v34, v6, v7                                  // 0000000061A0: 68440F06
	v_readlane_b32 s82, v3, 2                                  // 0000000061A4: D2890052 00010503
	s_lshr_b32 s61, s82, 24                                    // 0000000061AC: 8F3D9852
	s_and_b32 s82, s82, 0xffffff                               // 0000000061B0: 8652FF52 00FFFFFF
	s_mul_i32 s82, s82, s71                                    // 0000000061B8: 92524752
	s_mul_i32 s61, s60, s61                                    // 0000000061BC: 923D3D3C
	s_add_u32 s82, s82, s61                                    // 0000000061C0: 80523D52
	v_mul_lo_u32 v6, v5, s82                                   // 0000000061C4: D2850006 0000A505
	v_readlane_b32 s82, v3, 3                                  // 0000000061CC: D2890052 00010703
	s_lshr_b32 s61, s82, 24                                    // 0000000061D4: 8F3D9852
	s_and_b32 s82, s82, 0xffffff                               // 0000000061D8: 8652FF52 00FFFFFF
	s_mul_i32 s82, s82, s71                                    // 0000000061E0: 92524752
	s_mul_i32 s61, s60, s61                                    // 0000000061E4: 923D3D3C
	s_add_u32 s82, s82, s61                                    // 0000000061E8: 80523D52
	v_mul_lo_u32 v7, v4, s82                                   // 0000000061EC: D2850007 0000A504
	v_add_u32_e32 v35, v6, v7                                  // 0000000061F4: 68460F06
	v_and_b32_e32 v4, 31, v0                                   // 0000000061F8: 2608009F
	v_lshrrev_b32_e32 v4, 1, v4                                // 0000000061FC: 20080881
	s_cmp_eq_u32 s88, 0                                        // 000000006200: BF068058
	s_cselect_b32 s61, 2, 4                                    // 000000006204: 853D8482
	v_mul_lo_u32 v4, v4, s61                                   // 000000006208: D2850004 00007B04
	v_and_b32_e64 v5, v0, 1                                    // 000000006210: D1130005 00010300
	v_add_u32_e32 v4, v4, v5                                   // 000000006218: 68080B04
	v_lshlrev_b32_e32 v4, 2, v4                                // 00000000621C: 24080882
	v_add_u32_e32 v34, v34, v4                                 // 000000006220: 68440922
	v_add_u32_e32 v35, v35, v4                                 // 000000006224: 68460923
	s_waitcnt lgkmcnt(0)                                       // 000000006228: BF8CC07F
	s_barrier                                                  // 00000000622C: BF8A0000
	ds_read_b32 v40, v21                                       // 000000006230: D86C0000 28000015
	ds_read_b32 v41, v21 offset:64                             // 000000006238: D86C0040 29000015
	ds_read_b32 v42, v21 offset:2176                           // 000000006240: D86C0880 2A000015
	ds_read_b32 v43, v21 offset:2240                           // 000000006248: D86C08C0 2B000015
	ds_read_b32 v44, v21 offset:4352                           // 000000006250: D86C1100 2C000015
	ds_read_b32 v45, v21 offset:4416                           // 000000006258: D86C1140 2D000015
	ds_read_b32 v46, v21 offset:6528                           // 000000006260: D86C1980 2E000015
	ds_read_b32 v47, v21 offset:6592                           // 000000006268: D86C19C0 2F000015
	s_waitcnt lgkmcnt(0)                                       // 000000006270: BF8CC07F
	s_mov_b32 s36, -1                                          // 000000006274: BEA400C1
	s_mov_b32 s37, -1                                          // 000000006278: BEA500C1
	v_mov_b32_e32 v7, 0                                        // 00000000627C: 7E0E0280
	s_or_b32 s9, s9, 0x40000                                   // 000000006280: 8709FF09 00040000
	s_mov_b64 exec, s[36:37]                                   // 000000006288: BEFE0124
	v_mov_b32_e32 v6, v34                                      // 00000000628C: 7E0C0322
	s_mov_b64 s[60:61], 0                                      // 000000006290: BEBC0180
	v_readlane_b32 s82, v3, 0                                  // 000000006294: D2890052 00010103
	s_and_b32 s82, s82, 0xffffff                               // 00000000629C: 8652FF52 00FFFFFF
	s_cmp_lt_u32 s82, s66                                      // 0000000062A4: BF0A4252
	s_cselect_b32 s20, s36, s60                                // 0000000062A8: 85143C24
	v_readlane_b32 s82, v3, 1                                  // 0000000062AC: D2890052 00010303
	s_and_b32 s82, s82, 0xffffff                               // 0000000062B4: 8652FF52 00FFFFFF
	s_cmp_lt_u32 s82, s66                                      // 0000000062BC: BF0A4252
	s_cselect_b32 s21, s36, s60                                // 0000000062C0: 85153C24
	s_mov_b64 exec, s[20:21]                                   // 0000000062C4: BEFE0114
	buffer_store_dword v40, v6, s[8:11], 0 offen               // 0000000062C8: E0701000 80022806
	buffer_store_dword v42, v6, s[8:11], 0 offen offset:128    // 0000000062D0: E0701080 80022A06
	buffer_store_dword v44, v6, s[8:11], 0 offen offset:256    // 0000000062D8: E0701100 80022C06
	buffer_store_dword v46, v6, s[8:11], 0 offen offset:384    // 0000000062E0: E0701180 80022E06
	s_mov_b64 exec, s[36:37]                                   // 0000000062E8: BEFE0124
	v_mov_b32_e32 v6, v35                                      // 0000000062EC: 7E0C0323
	s_mov_b64 s[60:61], 0                                      // 0000000062F0: BEBC0180
	v_readlane_b32 s82, v3, 2                                  // 0000000062F4: D2890052 00010503
	s_and_b32 s82, s82, 0xffffff                               // 0000000062FC: 8652FF52 00FFFFFF
	s_cmp_lt_u32 s82, s66                                      // 000000006304: BF0A4252
	s_cselect_b32 s20, s36, s60                                // 000000006308: 85143C24
	v_readlane_b32 s82, v3, 3                                  // 00000000630C: D2890052 00010703
	s_and_b32 s82, s82, 0xffffff                               // 000000006314: 8652FF52 00FFFFFF
	s_cmp_lt_u32 s82, s66                                      // 00000000631C: BF0A4252
	s_cselect_b32 s21, s36, s60                                // 000000006320: 85153C24
	s_mov_b64 exec, s[20:21]                                   // 000000006324: BEFE0114
	buffer_store_dword v41, v6, s[8:11], 0 offen               // 000000006328: E0701000 80022906
	buffer_store_dword v43, v6, s[8:11], 0 offen offset:128    // 000000006330: E0701080 80022B06
	buffer_store_dword v45, v6, s[8:11], 0 offen offset:256    // 000000006338: E0701100 80022D06
	buffer_store_dword v47, v6, s[8:11], 0 offen offset:384    // 000000006340: E0701180 80022F06
	s_mov_b64 exec, s[36:37]                                   // 000000006348: BEFE0124
	s_branch label_0FCD                                        // 00000000634C: BF820176

0000000000006350 <label_0E57>:
	ds_write_b64 v20, v[40:41]                                 // 000000006350: D89A0000 00002814
	ds_write_b64 v20, v[44:45] offset:2176                     // 000000006358: D89A0880 00002C14
	ds_write_b64 v20, v[48:49] offset:4352                     // 000000006360: D89A1100 00003014
	ds_write_b64 v20, v[52:53] offset:6528                     // 000000006368: D89A1980 00003414
	v_lshrrev_b32_e32 v4, 5, v0                                // 000000006370: 20080085
	v_xor_b32_e32 v5, 1, v4                                    // 000000006374: 2A0A0881
	s_mul_i32 s60, s65, 2                                      // 000000006378: 923C8241
	s_cmp_eq_u32 s88, 0                                        // 00000000637C: BF068058
	s_cselect_b32 s61, 1, 4                                    // 000000006380: 853D8481
	s_mul_i32 s60, s61, s60                                    // 000000006384: 923C3C3D
	v_readlane_b32 s82, v3, 0                                  // 000000006388: D2890052 00010103
	s_lshr_b32 s61, s82, 24                                    // 000000006390: 8F3D9852
	s_and_b32 s82, s82, 0xffffff                               // 000000006394: 8652FF52 00FFFFFF
	s_mul_i32 s82, s82, s71                                    // 00000000639C: 92524752
	s_mul_i32 s61, s60, s61                                    // 0000000063A0: 923D3D3C
	s_add_u32 s82, s82, s61                                    // 0000000063A4: 80523D52
	v_mul_lo_u32 v6, v5, s82                                   // 0000000063A8: D2850006 0000A505
	v_readlane_b32 s82, v3, 1                                  // 0000000063B0: D2890052 00010303
	s_lshr_b32 s61, s82, 24                                    // 0000000063B8: 8F3D9852
	s_and_b32 s82, s82, 0xffffff                               // 0000000063BC: 8652FF52 00FFFFFF
	s_mul_i32 s82, s82, s71                                    // 0000000063C4: 92524752
	s_mul_i32 s61, s60, s61                                    // 0000000063C8: 923D3D3C
	s_add_u32 s82, s82, s61                                    // 0000000063CC: 80523D52
	v_mul_lo_u32 v7, v4, s82                                   // 0000000063D0: D2850007 0000A504
	v_add_u32_e32 v34, v6, v7                                  // 0000000063D8: 68440F06
	v_readlane_b32 s82, v3, 2                                  // 0000000063DC: D2890052 00010503
	s_lshr_b32 s61, s82, 24                                    // 0000000063E4: 8F3D9852
	s_and_b32 s82, s82, 0xffffff                               // 0000000063E8: 8652FF52 00FFFFFF
	s_mul_i32 s82, s82, s71                                    // 0000000063F0: 92524752
	s_mul_i32 s61, s60, s61                                    // 0000000063F4: 923D3D3C
	s_add_u32 s82, s82, s61                                    // 0000000063F8: 80523D52
	v_mul_lo_u32 v6, v5, s82                                   // 0000000063FC: D2850006 0000A505
	v_readlane_b32 s82, v3, 3                                  // 000000006404: D2890052 00010703
	s_lshr_b32 s61, s82, 24                                    // 00000000640C: 8F3D9852
	s_and_b32 s82, s82, 0xffffff                               // 000000006410: 8652FF52 00FFFFFF
	s_mul_i32 s82, s82, s71                                    // 000000006418: 92524752
	s_mul_i32 s61, s60, s61                                    // 00000000641C: 923D3D3C
	s_add_u32 s82, s82, s61                                    // 000000006420: 80523D52
	v_mul_lo_u32 v7, v4, s82                                   // 000000006424: D2850007 0000A504
	v_add_u32_e32 v35, v6, v7                                  // 00000000642C: 68460F06
	v_and_b32_e32 v4, 31, v0                                   // 000000006430: 2608009F
	v_lshrrev_b32_e32 v4, 1, v4                                // 000000006434: 20080881
	s_cmp_eq_u32 s88, 0                                        // 000000006438: BF068058
	s_cselect_b32 s61, 2, 4                                    // 00000000643C: 853D8482
	v_mul_lo_u32 v4, v4, s61                                   // 000000006440: D2850004 00007B04
	v_and_b32_e64 v5, v0, 1                                    // 000000006448: D1130005 00010300
	v_add_u32_e32 v4, v4, v5                                   // 000000006450: 68080B04
	v_lshlrev_b32_e32 v4, 2, v4                                // 000000006454: 24080882
	v_add_u32_e32 v34, v34, v4                                 // 000000006458: 68440922
	v_add_u32_e32 v35, v35, v4                                 // 00000000645C: 68460923
	s_waitcnt lgkmcnt(0)                                       // 000000006460: BF8CC07F
	s_barrier                                                  // 000000006464: BF8A0000
	ds_read_b32 v40, v21                                       // 000000006468: D86C0000 28000015
	ds_read_b32 v41, v21 offset:64                             // 000000006470: D86C0040 29000015
	ds_read_b32 v44, v21 offset:2176                           // 000000006478: D86C0880 2C000015
	ds_read_b32 v45, v21 offset:2240                           // 000000006480: D86C08C0 2D000015
	ds_read_b32 v48, v21 offset:4352                           // 000000006488: D86C1100 30000015
	ds_read_b32 v49, v21 offset:4416                           // 000000006490: D86C1140 31000015
	ds_read_b32 v52, v21 offset:6528                           // 000000006498: D86C1980 34000015
	ds_read_b32 v53, v21 offset:6592                           // 0000000064A0: D86C19C0 35000015
	s_waitcnt lgkmcnt(0)                                       // 0000000064A8: BF8CC07F
	s_mov_b32 s36, -1                                          // 0000000064AC: BEA400C1
	s_mov_b32 s37, -1                                          // 0000000064B0: BEA500C1
	v_mov_b32_e32 v7, 0                                        // 0000000064B4: 7E0E0280
	s_mov_b64 exec, s[36:37]                                   // 0000000064B8: BEFE0124
	v_mov_b32_e32 v6, v34                                      // 0000000064BC: 7E0C0322
	s_mov_b64 s[60:61], 0                                      // 0000000064C0: BEBC0180
	v_readlane_b32 s82, v3, 0                                  // 0000000064C4: D2890052 00010103
	s_and_b32 s82, s82, 0xffffff                               // 0000000064CC: 8652FF52 00FFFFFF
	s_cmp_lt_u32 s82, s66                                      // 0000000064D4: BF0A4252
	s_cselect_b32 s20, s36, s60                                // 0000000064D8: 85143C24
	v_readlane_b32 s82, v3, 1                                  // 0000000064DC: D2890052 00010303
	s_and_b32 s82, s82, 0xffffff                               // 0000000064E4: 8652FF52 00FFFFFF
	s_cmp_lt_u32 s82, s66                                      // 0000000064EC: BF0A4252
	s_cselect_b32 s21, s36, s60                                // 0000000064F0: 85153C24
	s_mov_b64 exec, s[20:21]                                   // 0000000064F4: BEFE0114
	global_atomic_add_f32 v6, v40, s[8:9]                      // 0000000064F8: DD348000 00082806
	global_atomic_add_f32 v6, v44, s[8:9] offset:256           // 000000006500: DD348100 00082C06
	global_atomic_add_f32 v6, v48, s[8:9] offset:512           // 000000006508: DD348200 00083006
	global_atomic_add_f32 v6, v52, s[8:9] offset:768           // 000000006510: DD348300 00083406
	s_mov_b64 exec, s[36:37]                                   // 000000006518: BEFE0124
	v_mov_b32_e32 v6, v35                                      // 00000000651C: 7E0C0323
	s_mov_b64 s[60:61], 0                                      // 000000006520: BEBC0180
	v_readlane_b32 s82, v3, 2                                  // 000000006524: D2890052 00010503
	s_and_b32 s82, s82, 0xffffff                               // 00000000652C: 8652FF52 00FFFFFF
	s_cmp_lt_u32 s82, s66                                      // 000000006534: BF0A4252
	s_cselect_b32 s20, s36, s60                                // 000000006538: 85143C24
	v_readlane_b32 s82, v3, 3                                  // 00000000653C: D2890052 00010703
	s_and_b32 s82, s82, 0xffffff                               // 000000006544: 8652FF52 00FFFFFF
	s_cmp_lt_u32 s82, s66                                      // 00000000654C: BF0A4252
	s_cselect_b32 s21, s36, s60                                // 000000006550: 85153C24
	s_mov_b64 exec, s[20:21]                                   // 000000006554: BEFE0114
	global_atomic_add_f32 v6, v41, s[8:9]                      // 000000006558: DD348000 00082906
	global_atomic_add_f32 v6, v45, s[8:9] offset:256           // 000000006560: DD348100 00082D06
	global_atomic_add_f32 v6, v49, s[8:9] offset:512           // 000000006568: DD348200 00083106
	global_atomic_add_f32 v6, v53, s[8:9] offset:768           // 000000006570: DD348300 00083506
	s_mov_b64 exec, s[36:37]                                   // 000000006578: BEFE0124
	ds_write_b64 v20, v[42:43]                                 // 00000000657C: D89A0000 00002A14
	ds_write_b64 v20, v[46:47] offset:2176                     // 000000006584: D89A0880 00002E14
	ds_write_b64 v20, v[50:51] offset:4352                     // 00000000658C: D89A1100 00003214
	ds_write_b64 v20, v[54:55] offset:6528                     // 000000006594: D89A1980 00003614
	s_waitcnt lgkmcnt(0)                                       // 00000000659C: BF8CC07F
	s_barrier                                                  // 0000000065A0: BF8A0000
	ds_read_b32 v42, v21                                       // 0000000065A4: D86C0000 2A000015
	ds_read_b32 v43, v21 offset:64                             // 0000000065AC: D86C0040 2B000015
	ds_read_b32 v46, v21 offset:2176                           // 0000000065B4: D86C0880 2E000015
	ds_read_b32 v47, v21 offset:2240                           // 0000000065BC: D86C08C0 2F000015
	ds_read_b32 v50, v21 offset:4352                           // 0000000065C4: D86C1100 32000015
	ds_read_b32 v51, v21 offset:4416                           // 0000000065CC: D86C1140 33000015
	ds_read_b32 v54, v21 offset:6528                           // 0000000065D4: D86C1980 36000015
	ds_read_b32 v55, v21 offset:6592                           // 0000000065DC: D86C19C0 37000015
	s_waitcnt lgkmcnt(0)                                       // 0000000065E4: BF8CC07F
	v_mov_b32_e32 v7, 0                                        // 0000000065E8: 7E0E0280
	s_mov_b64 exec, s[36:37]                                   // 0000000065EC: BEFE0124
	v_mov_b32_e32 v6, v34                                      // 0000000065F0: 7E0C0322
	s_mov_b64 s[60:61], 0                                      // 0000000065F4: BEBC0180
	v_readlane_b32 s82, v3, 0                                  // 0000000065F8: D2890052 00010103
	s_and_b32 s82, s82, 0xffffff                               // 000000006600: 8652FF52 00FFFFFF
	s_cmp_lt_u32 s82, s66                                      // 000000006608: BF0A4252
	s_cselect_b32 s20, s36, s60                                // 00000000660C: 85143C24
	v_readlane_b32 s82, v3, 1                                  // 000000006610: D2890052 00010303
	s_and_b32 s82, s82, 0xffffff                               // 000000006618: 8652FF52 00FFFFFF
	s_cmp_lt_u32 s82, s66                                      // 000000006620: BF0A4252
	s_cselect_b32 s21, s36, s60                                // 000000006624: 85153C24
	s_mov_b64 exec, s[20:21]                                   // 000000006628: BEFE0114
	global_atomic_add_f32 v6, v42, s[8:9] offset:8             // 00000000662C: DD348008 00082A06
	global_atomic_add_f32 v6, v46, s[8:9] offset:264           // 000000006634: DD348108 00082E06
	global_atomic_add_f32 v6, v50, s[8:9] offset:520           // 00000000663C: DD348208 00083206
	global_atomic_add_f32 v6, v54, s[8:9] offset:776           // 000000006644: DD348308 00083606
	s_mov_b64 exec, s[36:37]                                   // 00000000664C: BEFE0124
	v_mov_b32_e32 v6, v35                                      // 000000006650: 7E0C0323
	s_mov_b64 s[60:61], 0                                      // 000000006654: BEBC0180
	v_readlane_b32 s82, v3, 2                                  // 000000006658: D2890052 00010503
	s_and_b32 s82, s82, 0xffffff                               // 000000006660: 8652FF52 00FFFFFF
	s_cmp_lt_u32 s82, s66                                      // 000000006668: BF0A4252
	s_cselect_b32 s20, s36, s60                                // 00000000666C: 85143C24
	v_readlane_b32 s82, v3, 3                                  // 000000006670: D2890052 00010703
	s_and_b32 s82, s82, 0xffffff                               // 000000006678: 8652FF52 00FFFFFF
	s_cmp_lt_u32 s82, s66                                      // 000000006680: BF0A4252
	s_cselect_b32 s21, s36, s60                                // 000000006684: 85153C24
	s_mov_b64 exec, s[20:21]                                   // 000000006688: BEFE0114
	global_atomic_add_f32 v6, v43, s[8:9] offset:8             // 00000000668C: DD348008 00082B06
	global_atomic_add_f32 v6, v47, s[8:9] offset:264           // 000000006694: DD348108 00082F06
	global_atomic_add_f32 v6, v51, s[8:9] offset:520           // 00000000669C: DD348208 00083306
	global_atomic_add_f32 v6, v55, s[8:9] offset:776           // 0000000066A4: DD348308 00083706
	s_mov_b64 exec, s[36:37]                                   // 0000000066AC: BEFE0124
	ds_write_b64 v20, v[56:57]                                 // 0000000066B0: D89A0000 00003814
	ds_write_b64 v20, v[60:61] offset:2176                     // 0000000066B8: D89A0880 00003C14
	ds_write_b64 v20, v[64:65] offset:4352                     // 0000000066C0: D89A1100 00004014
	ds_write_b64 v20, v[68:69] offset:6528                     // 0000000066C8: D89A1980 00004414
	s_waitcnt lgkmcnt(0)                                       // 0000000066D0: BF8CC07F
	s_barrier                                                  // 0000000066D4: BF8A0000
	ds_read_b32 v56, v21                                       // 0000000066D8: D86C0000 38000015
	ds_read_b32 v57, v21 offset:64                             // 0000000066E0: D86C0040 39000015
	ds_read_b32 v60, v21 offset:2176                           // 0000000066E8: D86C0880 3C000015
	ds_read_b32 v61, v21 offset:2240                           // 0000000066F0: D86C08C0 3D000015
	ds_read_b32 v64, v21 offset:4352                           // 0000000066F8: D86C1100 40000015
	ds_read_b32 v65, v21 offset:4416                           // 000000006700: D86C1140 41000015
	ds_read_b32 v68, v21 offset:6528                           // 000000006708: D86C1980 44000015
	ds_read_b32 v69, v21 offset:6592                           // 000000006710: D86C19C0 45000015
	s_mul_i32 s60, s65, 4                                      // 000000006718: 923C8441
	s_add_u32 s8, s60, s8                                      // 00000000671C: 8008083C
	s_addc_u32 s9, 0, s9                                       // 000000006720: 82090980
	s_waitcnt lgkmcnt(0)                                       // 000000006724: BF8CC07F
	v_mov_b32_e32 v7, 0                                        // 000000006728: 7E0E0280
	s_mov_b64 exec, s[36:37]                                   // 00000000672C: BEFE0124
	v_mov_b32_e32 v6, v34                                      // 000000006730: 7E0C0322
	s_mov_b64 s[60:61], 0                                      // 000000006734: BEBC0180
	v_readlane_b32 s82, v3, 0                                  // 000000006738: D2890052 00010103
	s_and_b32 s82, s82, 0xffffff                               // 000000006740: 8652FF52 00FFFFFF
	s_cmp_lt_u32 s82, s66                                      // 000000006748: BF0A4252
	s_cselect_b32 s20, s36, s60                                // 00000000674C: 85143C24
	v_readlane_b32 s82, v3, 1                                  // 000000006750: D2890052 00010303
	s_and_b32 s82, s82, 0xffffff                               // 000000006758: 8652FF52 00FFFFFF
	s_cmp_lt_u32 s82, s66                                      // 000000006760: BF0A4252
	s_cselect_b32 s21, s36, s60                                // 000000006764: 85153C24
	s_mov_b64 exec, s[20:21]                                   // 000000006768: BEFE0114
	global_atomic_add_f32 v6, v56, s[8:9]                      // 00000000676C: DD348000 00083806
	global_atomic_add_f32 v6, v60, s[8:9] offset:256           // 000000006774: DD348100 00083C06
	global_atomic_add_f32 v6, v64, s[8:9] offset:512           // 00000000677C: DD348200 00084006
	global_atomic_add_f32 v6, v68, s[8:9] offset:768           // 000000006784: DD348300 00084406
	s_mov_b64 exec, s[36:37]                                   // 00000000678C: BEFE0124
	v_mov_b32_e32 v6, v35                                      // 000000006790: 7E0C0323
	s_mov_b64 s[60:61], 0                                      // 000000006794: BEBC0180
	v_readlane_b32 s82, v3, 2                                  // 000000006798: D2890052 00010503
	s_and_b32 s82, s82, 0xffffff                               // 0000000067A0: 8652FF52 00FFFFFF
	s_cmp_lt_u32 s82, s66                                      // 0000000067A8: BF0A4252
	s_cselect_b32 s20, s36, s60                                // 0000000067AC: 85143C24
	v_readlane_b32 s82, v3, 3                                  // 0000000067B0: D2890052 00010703
	s_and_b32 s82, s82, 0xffffff                               // 0000000067B8: 8652FF52 00FFFFFF
	s_cmp_lt_u32 s82, s66                                      // 0000000067C0: BF0A4252
	s_cselect_b32 s21, s36, s60                                // 0000000067C4: 85153C24
	s_mov_b64 exec, s[20:21]                                   // 0000000067C8: BEFE0114
	global_atomic_add_f32 v6, v57, s[8:9]                      // 0000000067CC: DD348000 00083906
	global_atomic_add_f32 v6, v61, s[8:9] offset:256           // 0000000067D4: DD348100 00083D06
	global_atomic_add_f32 v6, v65, s[8:9] offset:512           // 0000000067DC: DD348200 00084106
	global_atomic_add_f32 v6, v69, s[8:9] offset:768           // 0000000067E4: DD348300 00084506
	s_mov_b64 exec, s[36:37]                                   // 0000000067EC: BEFE0124
	ds_write_b64 v20, v[58:59]                                 // 0000000067F0: D89A0000 00003A14
	ds_write_b64 v20, v[62:63] offset:2176                     // 0000000067F8: D89A0880 00003E14
	ds_write_b64 v20, v[66:67] offset:4352                     // 000000006800: D89A1100 00004214
	ds_write_b64 v20, v[70:71] offset:6528                     // 000000006808: D89A1980 00004614
	s_waitcnt lgkmcnt(0)                                       // 000000006810: BF8CC07F
	s_barrier                                                  // 000000006814: BF8A0000
	ds_read_b32 v58, v21                                       // 000000006818: D86C0000 3A000015
	ds_read_b32 v59, v21 offset:64                             // 000000006820: D86C0040 3B000015
	ds_read_b32 v62, v21 offset:2176                           // 000000006828: D86C0880 3E000015
	ds_read_b32 v63, v21 offset:2240                           // 000000006830: D86C08C0 3F000015
	ds_read_b32 v66, v21 offset:4352                           // 000000006838: D86C1100 42000015
	ds_read_b32 v67, v21 offset:4416                           // 000000006840: D86C1140 43000015
	ds_read_b32 v70, v21 offset:6528                           // 000000006848: D86C1980 46000015
	ds_read_b32 v71, v21 offset:6592                           // 000000006850: D86C19C0 47000015
	s_waitcnt lgkmcnt(0)                                       // 000000006858: BF8CC07F
	v_mov_b32_e32 v7, 0                                        // 00000000685C: 7E0E0280
	s_mov_b64 exec, s[36:37]                                   // 000000006860: BEFE0124
	v_mov_b32_e32 v6, v34                                      // 000000006864: 7E0C0322
	s_mov_b64 s[60:61], 0                                      // 000000006868: BEBC0180
	v_readlane_b32 s82, v3, 0                                  // 00000000686C: D2890052 00010103
	s_and_b32 s82, s82, 0xffffff                               // 000000006874: 8652FF52 00FFFFFF
	s_cmp_lt_u32 s82, s66                                      // 00000000687C: BF0A4252
	s_cselect_b32 s20, s36, s60                                // 000000006880: 85143C24
	v_readlane_b32 s82, v3, 1                                  // 000000006884: D2890052 00010303
	s_and_b32 s82, s82, 0xffffff                               // 00000000688C: 8652FF52 00FFFFFF
	s_cmp_lt_u32 s82, s66                                      // 000000006894: BF0A4252
	s_cselect_b32 s21, s36, s60                                // 000000006898: 85153C24
	s_mov_b64 exec, s[20:21]                                   // 00000000689C: BEFE0114
	global_atomic_add_f32 v6, v58, s[8:9] offset:8             // 0000000068A0: DD348008 00083A06
	global_atomic_add_f32 v6, v62, s[8:9] offset:264           // 0000000068A8: DD348108 00083E06
	global_atomic_add_f32 v6, v66, s[8:9] offset:520           // 0000000068B0: DD348208 00084206
	global_atomic_add_f32 v6, v70, s[8:9] offset:776           // 0000000068B8: DD348308 00084606
	s_mov_b64 exec, s[36:37]                                   // 0000000068C0: BEFE0124
	v_mov_b32_e32 v6, v35                                      // 0000000068C4: 7E0C0323
	s_mov_b64 s[60:61], 0                                      // 0000000068C8: BEBC0180
	v_readlane_b32 s82, v3, 2                                  // 0000000068CC: D2890052 00010503
	s_and_b32 s82, s82, 0xffffff                               // 0000000068D4: 8652FF52 00FFFFFF
	s_cmp_lt_u32 s82, s66                                      // 0000000068DC: BF0A4252
	s_cselect_b32 s20, s36, s60                                // 0000000068E0: 85143C24
	v_readlane_b32 s82, v3, 3                                  // 0000000068E4: D2890052 00010703
	s_and_b32 s82, s82, 0xffffff                               // 0000000068EC: 8652FF52 00FFFFFF
	s_cmp_lt_u32 s82, s66                                      // 0000000068F4: BF0A4252
	s_cselect_b32 s21, s36, s60                                // 0000000068F8: 85153C24
	s_mov_b64 exec, s[20:21]                                   // 0000000068FC: BEFE0114
	global_atomic_add_f32 v6, v59, s[8:9] offset:8             // 000000006900: DD348008 00083B06
	global_atomic_add_f32 v6, v63, s[8:9] offset:264           // 000000006908: DD348108 00083F06
	global_atomic_add_f32 v6, v67, s[8:9] offset:520           // 000000006910: DD348208 00084306
	global_atomic_add_f32 v6, v71, s[8:9] offset:776           // 000000006918: DD348308 00084706
	s_mov_b64 exec, s[36:37]                                   // 000000006920: BEFE0124
	s_branch label_0FCD                                        // 000000006924: BF820000

0000000000006928 <label_0FCD>:
	s_waitcnt vmcnt(0) expcnt(0) lgkmcnt(0)                    // 000000006928: BF8C0000
	s_endpgm                                                   // 00000000692C: BF810000
